;; amdgpu-corpus repo=ROCm/rocFFT kind=compiled arch=gfx1201 opt=O3
	.text
	.amdgcn_target "amdgcn-amd-amdhsa--gfx1201"
	.amdhsa_code_object_version 6
	.protected	fft_rtc_back_len1694_factors_11_2_11_7_wgs_154_tpt_154_halfLds_sp_ip_CI_unitstride_sbrr_dirReg ; -- Begin function fft_rtc_back_len1694_factors_11_2_11_7_wgs_154_tpt_154_halfLds_sp_ip_CI_unitstride_sbrr_dirReg
	.globl	fft_rtc_back_len1694_factors_11_2_11_7_wgs_154_tpt_154_halfLds_sp_ip_CI_unitstride_sbrr_dirReg
	.p2align	8
	.type	fft_rtc_back_len1694_factors_11_2_11_7_wgs_154_tpt_154_halfLds_sp_ip_CI_unitstride_sbrr_dirReg,@function
fft_rtc_back_len1694_factors_11_2_11_7_wgs_154_tpt_154_halfLds_sp_ip_CI_unitstride_sbrr_dirReg: ; @fft_rtc_back_len1694_factors_11_2_11_7_wgs_154_tpt_154_halfLds_sp_ip_CI_unitstride_sbrr_dirReg
; %bb.0:
	s_clause 0x2
	s_load_b128 s[4:7], s[0:1], 0x0
	s_load_b64 s[8:9], s[0:1], 0x50
	s_load_b64 s[10:11], s[0:1], 0x18
	v_mul_u32_u24_e32 v1, 0x1aa, v0
	v_mov_b32_e32 v3, 0
	s_delay_alu instid0(VALU_DEP_2) | instskip(NEXT) | instid1(VALU_DEP_1)
	v_lshrrev_b32_e32 v1, 16, v1
	v_add_nc_u32_e32 v5, ttmp9, v1
	v_mov_b32_e32 v1, 0
	v_mov_b32_e32 v2, 0
	;; [unrolled: 1-line block ×3, first 2 shown]
	s_wait_kmcnt 0x0
	v_cmp_lt_u64_e64 s2, s[6:7], 2
	s_delay_alu instid0(VALU_DEP_1)
	s_and_b32 vcc_lo, exec_lo, s2
	s_cbranch_vccnz .LBB0_8
; %bb.1:
	s_load_b64 s[2:3], s[0:1], 0x10
	v_mov_b32_e32 v1, 0
	v_mov_b32_e32 v2, 0
	s_add_nc_u64 s[12:13], s[10:11], 8
	s_mov_b64 s[14:15], 1
	s_wait_kmcnt 0x0
	s_add_nc_u64 s[16:17], s[2:3], 8
	s_mov_b32 s3, 0
.LBB0_2:                                ; =>This Inner Loop Header: Depth=1
	s_load_b64 s[18:19], s[16:17], 0x0
                                        ; implicit-def: $vgpr7_vgpr8
	s_mov_b32 s2, exec_lo
	s_wait_kmcnt 0x0
	v_or_b32_e32 v4, s19, v6
	s_delay_alu instid0(VALU_DEP_1)
	v_cmpx_ne_u64_e32 0, v[3:4]
	s_wait_alu 0xfffe
	s_xor_b32 s20, exec_lo, s2
	s_cbranch_execz .LBB0_4
; %bb.3:                                ;   in Loop: Header=BB0_2 Depth=1
	s_cvt_f32_u32 s2, s18
	s_cvt_f32_u32 s21, s19
	s_sub_nc_u64 s[24:25], 0, s[18:19]
	s_wait_alu 0xfffe
	s_delay_alu instid0(SALU_CYCLE_1) | instskip(SKIP_1) | instid1(SALU_CYCLE_2)
	s_fmamk_f32 s2, s21, 0x4f800000, s2
	s_wait_alu 0xfffe
	v_s_rcp_f32 s2, s2
	s_delay_alu instid0(TRANS32_DEP_1) | instskip(SKIP_1) | instid1(SALU_CYCLE_2)
	s_mul_f32 s2, s2, 0x5f7ffffc
	s_wait_alu 0xfffe
	s_mul_f32 s21, s2, 0x2f800000
	s_wait_alu 0xfffe
	s_delay_alu instid0(SALU_CYCLE_2) | instskip(SKIP_1) | instid1(SALU_CYCLE_2)
	s_trunc_f32 s21, s21
	s_wait_alu 0xfffe
	s_fmamk_f32 s2, s21, 0xcf800000, s2
	s_cvt_u32_f32 s23, s21
	s_wait_alu 0xfffe
	s_delay_alu instid0(SALU_CYCLE_1) | instskip(SKIP_1) | instid1(SALU_CYCLE_2)
	s_cvt_u32_f32 s22, s2
	s_wait_alu 0xfffe
	s_mul_u64 s[26:27], s[24:25], s[22:23]
	s_wait_alu 0xfffe
	s_mul_hi_u32 s29, s22, s27
	s_mul_i32 s28, s22, s27
	s_mul_hi_u32 s2, s22, s26
	s_mul_i32 s30, s23, s26
	s_wait_alu 0xfffe
	s_add_nc_u64 s[28:29], s[2:3], s[28:29]
	s_mul_hi_u32 s21, s23, s26
	s_mul_hi_u32 s31, s23, s27
	s_add_co_u32 s2, s28, s30
	s_wait_alu 0xfffe
	s_add_co_ci_u32 s2, s29, s21
	s_mul_i32 s26, s23, s27
	s_add_co_ci_u32 s27, s31, 0
	s_wait_alu 0xfffe
	s_add_nc_u64 s[26:27], s[2:3], s[26:27]
	s_wait_alu 0xfffe
	v_add_co_u32 v4, s2, s22, s26
	s_delay_alu instid0(VALU_DEP_1) | instskip(SKIP_1) | instid1(VALU_DEP_1)
	s_cmp_lg_u32 s2, 0
	s_add_co_ci_u32 s23, s23, s27
	v_readfirstlane_b32 s22, v4
	s_wait_alu 0xfffe
	s_delay_alu instid0(VALU_DEP_1)
	s_mul_u64 s[24:25], s[24:25], s[22:23]
	s_wait_alu 0xfffe
	s_mul_hi_u32 s27, s22, s25
	s_mul_i32 s26, s22, s25
	s_mul_hi_u32 s2, s22, s24
	s_mul_i32 s28, s23, s24
	s_wait_alu 0xfffe
	s_add_nc_u64 s[26:27], s[2:3], s[26:27]
	s_mul_hi_u32 s21, s23, s24
	s_mul_hi_u32 s22, s23, s25
	s_wait_alu 0xfffe
	s_add_co_u32 s2, s26, s28
	s_add_co_ci_u32 s2, s27, s21
	s_mul_i32 s24, s23, s25
	s_add_co_ci_u32 s25, s22, 0
	s_wait_alu 0xfffe
	s_add_nc_u64 s[24:25], s[2:3], s[24:25]
	s_wait_alu 0xfffe
	v_add_co_u32 v4, s2, v4, s24
	s_delay_alu instid0(VALU_DEP_1) | instskip(SKIP_1) | instid1(VALU_DEP_1)
	s_cmp_lg_u32 s2, 0
	s_add_co_ci_u32 s2, s23, s25
	v_mul_hi_u32 v13, v5, v4
	s_wait_alu 0xfffe
	v_mad_co_u64_u32 v[7:8], null, v5, s2, 0
	v_mad_co_u64_u32 v[9:10], null, v6, v4, 0
	;; [unrolled: 1-line block ×3, first 2 shown]
	s_delay_alu instid0(VALU_DEP_3) | instskip(SKIP_1) | instid1(VALU_DEP_4)
	v_add_co_u32 v4, vcc_lo, v13, v7
	s_wait_alu 0xfffd
	v_add_co_ci_u32_e32 v7, vcc_lo, 0, v8, vcc_lo
	s_delay_alu instid0(VALU_DEP_2) | instskip(SKIP_1) | instid1(VALU_DEP_2)
	v_add_co_u32 v4, vcc_lo, v4, v9
	s_wait_alu 0xfffd
	v_add_co_ci_u32_e32 v4, vcc_lo, v7, v10, vcc_lo
	s_wait_alu 0xfffd
	v_add_co_ci_u32_e32 v7, vcc_lo, 0, v12, vcc_lo
	s_delay_alu instid0(VALU_DEP_2) | instskip(SKIP_1) | instid1(VALU_DEP_2)
	v_add_co_u32 v4, vcc_lo, v4, v11
	s_wait_alu 0xfffd
	v_add_co_ci_u32_e32 v9, vcc_lo, 0, v7, vcc_lo
	s_delay_alu instid0(VALU_DEP_2) | instskip(SKIP_1) | instid1(VALU_DEP_3)
	v_mul_lo_u32 v10, s19, v4
	v_mad_co_u64_u32 v[7:8], null, s18, v4, 0
	v_mul_lo_u32 v11, s18, v9
	s_delay_alu instid0(VALU_DEP_2) | instskip(NEXT) | instid1(VALU_DEP_2)
	v_sub_co_u32 v7, vcc_lo, v5, v7
	v_add3_u32 v8, v8, v11, v10
	s_delay_alu instid0(VALU_DEP_1) | instskip(SKIP_1) | instid1(VALU_DEP_1)
	v_sub_nc_u32_e32 v10, v6, v8
	s_wait_alu 0xfffd
	v_subrev_co_ci_u32_e64 v10, s2, s19, v10, vcc_lo
	v_add_co_u32 v11, s2, v4, 2
	s_wait_alu 0xf1ff
	v_add_co_ci_u32_e64 v12, s2, 0, v9, s2
	v_sub_co_u32 v13, s2, v7, s18
	v_sub_co_ci_u32_e32 v8, vcc_lo, v6, v8, vcc_lo
	s_wait_alu 0xf1ff
	v_subrev_co_ci_u32_e64 v10, s2, 0, v10, s2
	s_delay_alu instid0(VALU_DEP_3) | instskip(NEXT) | instid1(VALU_DEP_3)
	v_cmp_le_u32_e32 vcc_lo, s18, v13
	v_cmp_eq_u32_e64 s2, s19, v8
	s_wait_alu 0xfffd
	v_cndmask_b32_e64 v13, 0, -1, vcc_lo
	v_cmp_le_u32_e32 vcc_lo, s19, v10
	s_wait_alu 0xfffd
	v_cndmask_b32_e64 v14, 0, -1, vcc_lo
	v_cmp_le_u32_e32 vcc_lo, s18, v7
	;; [unrolled: 3-line block ×3, first 2 shown]
	s_wait_alu 0xfffd
	v_cndmask_b32_e64 v15, 0, -1, vcc_lo
	v_cmp_eq_u32_e32 vcc_lo, s19, v10
	s_wait_alu 0xf1ff
	s_delay_alu instid0(VALU_DEP_2)
	v_cndmask_b32_e64 v7, v15, v7, s2
	s_wait_alu 0xfffd
	v_cndmask_b32_e32 v10, v14, v13, vcc_lo
	v_add_co_u32 v13, vcc_lo, v4, 1
	s_wait_alu 0xfffd
	v_add_co_ci_u32_e32 v14, vcc_lo, 0, v9, vcc_lo
	s_delay_alu instid0(VALU_DEP_3) | instskip(SKIP_2) | instid1(VALU_DEP_3)
	v_cmp_ne_u32_e32 vcc_lo, 0, v10
	s_wait_alu 0xfffd
	v_cndmask_b32_e32 v10, v13, v11, vcc_lo
	v_cndmask_b32_e32 v8, v14, v12, vcc_lo
	v_cmp_ne_u32_e32 vcc_lo, 0, v7
	s_wait_alu 0xfffd
	s_delay_alu instid0(VALU_DEP_2)
	v_dual_cndmask_b32 v7, v4, v10 :: v_dual_cndmask_b32 v8, v9, v8
.LBB0_4:                                ;   in Loop: Header=BB0_2 Depth=1
	s_wait_alu 0xfffe
	s_and_not1_saveexec_b32 s2, s20
	s_cbranch_execz .LBB0_6
; %bb.5:                                ;   in Loop: Header=BB0_2 Depth=1
	v_cvt_f32_u32_e32 v4, s18
	s_sub_co_i32 s20, 0, s18
	s_delay_alu instid0(VALU_DEP_1) | instskip(NEXT) | instid1(TRANS32_DEP_1)
	v_rcp_iflag_f32_e32 v4, v4
	v_mul_f32_e32 v4, 0x4f7ffffe, v4
	s_delay_alu instid0(VALU_DEP_1) | instskip(SKIP_1) | instid1(VALU_DEP_1)
	v_cvt_u32_f32_e32 v4, v4
	s_wait_alu 0xfffe
	v_mul_lo_u32 v7, s20, v4
	s_delay_alu instid0(VALU_DEP_1) | instskip(NEXT) | instid1(VALU_DEP_1)
	v_mul_hi_u32 v7, v4, v7
	v_add_nc_u32_e32 v4, v4, v7
	s_delay_alu instid0(VALU_DEP_1) | instskip(NEXT) | instid1(VALU_DEP_1)
	v_mul_hi_u32 v4, v5, v4
	v_mul_lo_u32 v7, v4, s18
	v_add_nc_u32_e32 v8, 1, v4
	s_delay_alu instid0(VALU_DEP_2) | instskip(NEXT) | instid1(VALU_DEP_1)
	v_sub_nc_u32_e32 v7, v5, v7
	v_subrev_nc_u32_e32 v9, s18, v7
	v_cmp_le_u32_e32 vcc_lo, s18, v7
	s_wait_alu 0xfffd
	s_delay_alu instid0(VALU_DEP_2) | instskip(NEXT) | instid1(VALU_DEP_1)
	v_dual_cndmask_b32 v7, v7, v9 :: v_dual_cndmask_b32 v4, v4, v8
	v_cmp_le_u32_e32 vcc_lo, s18, v7
	s_delay_alu instid0(VALU_DEP_2) | instskip(SKIP_1) | instid1(VALU_DEP_1)
	v_add_nc_u32_e32 v8, 1, v4
	s_wait_alu 0xfffd
	v_dual_cndmask_b32 v7, v4, v8 :: v_dual_mov_b32 v8, v3
.LBB0_6:                                ;   in Loop: Header=BB0_2 Depth=1
	s_wait_alu 0xfffe
	s_or_b32 exec_lo, exec_lo, s2
	s_load_b64 s[20:21], s[12:13], 0x0
	s_delay_alu instid0(VALU_DEP_1)
	v_mul_lo_u32 v4, v8, s18
	v_mul_lo_u32 v11, v7, s19
	v_mad_co_u64_u32 v[9:10], null, v7, s18, 0
	s_add_nc_u64 s[14:15], s[14:15], 1
	s_add_nc_u64 s[12:13], s[12:13], 8
	s_wait_alu 0xfffe
	v_cmp_ge_u64_e64 s2, s[14:15], s[6:7]
	s_add_nc_u64 s[16:17], s[16:17], 8
	s_delay_alu instid0(VALU_DEP_2) | instskip(NEXT) | instid1(VALU_DEP_3)
	v_add3_u32 v4, v10, v11, v4
	v_sub_co_u32 v5, vcc_lo, v5, v9
	s_wait_alu 0xfffd
	s_delay_alu instid0(VALU_DEP_2) | instskip(SKIP_3) | instid1(VALU_DEP_2)
	v_sub_co_ci_u32_e32 v4, vcc_lo, v6, v4, vcc_lo
	s_and_b32 vcc_lo, exec_lo, s2
	s_wait_kmcnt 0x0
	v_mul_lo_u32 v6, s21, v5
	v_mul_lo_u32 v4, s20, v4
	v_mad_co_u64_u32 v[1:2], null, s20, v5, v[1:2]
	s_delay_alu instid0(VALU_DEP_1)
	v_add3_u32 v2, v6, v2, v4
	s_wait_alu 0xfffe
	s_cbranch_vccnz .LBB0_9
; %bb.7:                                ;   in Loop: Header=BB0_2 Depth=1
	v_dual_mov_b32 v5, v7 :: v_dual_mov_b32 v6, v8
	s_branch .LBB0_2
.LBB0_8:
	v_dual_mov_b32 v8, v6 :: v_dual_mov_b32 v7, v5
.LBB0_9:
	s_lshl_b64 s[2:3], s[6:7], 3
	v_mul_hi_u32 v5, 0x1a98ef7, v0
	s_wait_alu 0xfffe
	s_add_nc_u64 s[2:3], s[10:11], s[2:3]
	v_mov_b32_e32 v24, 0
	s_load_b64 s[2:3], s[2:3], 0x0
	s_load_b64 s[0:1], s[0:1], 0x20
	v_mov_b32_e32 v25, 0
                                        ; implicit-def: $vgpr35
                                        ; implicit-def: $vgpr33
                                        ; implicit-def: $vgpr23
                                        ; implicit-def: $vgpr9
                                        ; implicit-def: $vgpr17
                                        ; implicit-def: $vgpr27
                                        ; implicit-def: $vgpr29
                                        ; implicit-def: $vgpr31
	s_wait_kmcnt 0x0
	v_mul_lo_u32 v3, s2, v8
	v_mul_lo_u32 v4, s3, v7
	v_mad_co_u64_u32 v[1:2], null, s2, v7, v[1:2]
	v_cmp_gt_u64_e32 vcc_lo, s[0:1], v[7:8]
                                        ; implicit-def: $vgpr7
	s_delay_alu instid0(VALU_DEP_2) | instskip(SKIP_1) | instid1(VALU_DEP_2)
	v_add3_u32 v2, v4, v2, v3
	v_mul_u32_u24_e32 v4, 0x9a, v5
                                        ; implicit-def: $vgpr5
	v_lshlrev_b64_e32 v[2:3], 3, v[1:2]
	s_delay_alu instid0(VALU_DEP_2)
	v_sub_nc_u32_e32 v0, v0, v4
	s_and_saveexec_b32 s1, vcc_lo
; %bb.10:
	v_mov_b32_e32 v1, 0
	s_delay_alu instid0(VALU_DEP_1) | instskip(NEXT) | instid1(VALU_DEP_4)
	v_lshlrev_b64_e32 v[4:5], 3, v[0:1]
	v_add_co_u32 v1, s0, s8, v2
	s_wait_alu 0xf1ff
	v_add_co_ci_u32_e64 v6, s0, s9, v3, s0
	s_delay_alu instid0(VALU_DEP_2) | instskip(SKIP_1) | instid1(VALU_DEP_2)
	v_add_co_u32 v10, s0, v1, v4
	s_wait_alu 0xf1ff
	v_add_co_ci_u32_e64 v11, s0, v6, v5, s0
	s_clause 0xa
	global_load_b64 v[24:25], v[10:11], off
	global_load_b64 v[34:35], v[10:11], off offset:1232
	global_load_b64 v[32:33], v[10:11], off offset:2464
	;; [unrolled: 1-line block ×10, first 2 shown]
; %bb.11:
	s_wait_alu 0xfffe
	s_or_b32 exec_lo, exec_lo, s1
	s_wait_loadcnt 0x0
	v_dual_add_f32 v1, v34, v24 :: v_dual_sub_f32 v10, v35, v31
	v_dual_add_f32 v11, v34, v30 :: v_dual_add_f32 v12, v32, v28
	v_sub_f32_e32 v13, v33, v29
	s_delay_alu instid0(VALU_DEP_3) | instskip(SKIP_1) | instid1(VALU_DEP_3)
	v_dual_add_f32 v1, v32, v1 :: v_dual_mul_f32 v18, 0xbf7d64f0, v10
	v_mul_f32_e32 v14, 0xbf0a6770, v10
	v_dual_mul_f32 v15, 0xbf68dda4, v10 :: v_dual_mul_f32 v20, 0xbf68dda4, v13
	s_delay_alu instid0(VALU_DEP_3) | instskip(NEXT) | instid1(VALU_DEP_4)
	v_add_f32_e32 v1, v22, v1
	v_fmamk_f32 v39, v11, 0xbe11bafb, v18
	v_fma_f32 v18, 0xbe11bafb, v11, -v18
	v_fmamk_f32 v37, v11, 0x3f575c64, v14
	v_fma_f32 v14, 0x3f575c64, v11, -v14
	v_mul_f32_e32 v19, 0xbf4178ce, v10
	v_dual_mul_f32 v10, 0xbe903f40, v10 :: v_dual_add_f32 v1, v8, v1
	v_fmamk_f32 v38, v11, 0x3ed4b147, v15
	s_delay_alu instid0(VALU_DEP_4) | instskip(SKIP_1) | instid1(VALU_DEP_4)
	v_dual_add_f32 v14, v14, v24 :: v_dual_mul_f32 v21, 0xbf4178ce, v13
	v_fma_f32 v15, 0x3ed4b147, v11, -v15
	v_dual_add_f32 v1, v4, v1 :: v_dual_fmamk_f32 v40, v11, 0xbf27a4f4, v19
	v_fma_f32 v19, 0xbf27a4f4, v11, -v19
	v_fmamk_f32 v41, v11, 0xbf75a155, v10
	v_fma_f32 v10, 0xbf75a155, v11, -v10
	v_add_f32_e32 v38, v38, v24
	v_dual_add_f32 v1, v6, v1 :: v_dual_fmamk_f32 v42, v12, 0xbf27a4f4, v21
	v_add_f32_e32 v18, v18, v24
	v_dual_mul_f32 v36, 0x3e903f40, v13 :: v_dual_add_f32 v37, v37, v24
	v_fmamk_f32 v11, v12, 0x3ed4b147, v20
	v_fma_f32 v20, 0x3ed4b147, v12, -v20
	v_add_f32_e32 v1, v16, v1
	v_add_f32_e32 v15, v15, v24
	;; [unrolled: 1-line block ×7, first 2 shown]
	v_fma_f32 v24, 0xbf75a155, v12, -v36
	v_fma_f32 v21, 0xbf27a4f4, v12, -v21
	v_add_f32_e32 v14, v20, v14
	v_fmamk_f32 v20, v12, 0xbf75a155, v36
	v_add_f32_e32 v36, v42, v38
	v_add_f32_e32 v18, v24, v18
	v_dual_sub_f32 v24, v23, v27 :: v_dual_add_f32 v1, v26, v1
	v_add_f32_e32 v15, v21, v15
	v_dual_mul_f32 v21, 0x3f7d64f0, v13 :: v_dual_add_f32 v20, v20, v39
	v_mul_f32_e32 v13, 0x3f0a6770, v13
	s_delay_alu instid0(VALU_DEP_4) | instskip(SKIP_1) | instid1(VALU_DEP_4)
	v_dual_add_f32 v1, v28, v1 :: v_dual_add_f32 v38, v22, v26
	v_add_f32_e32 v11, v11, v37
	v_fmamk_f32 v37, v12, 0xbe11bafb, v21
	v_fma_f32 v21, 0xbe11bafb, v12, -v21
	v_fmamk_f32 v42, v12, 0x3f575c64, v13
	v_fma_f32 v12, 0x3f575c64, v12, -v13
	v_add_f32_e32 v1, v30, v1
	v_cmp_gt_u32_e64 s0, 0x4d, v0
	v_add_f32_e32 v19, v21, v19
	s_delay_alu instid0(VALU_DEP_4) | instskip(SKIP_1) | instid1(VALU_DEP_1)
	v_dual_add_f32 v21, v42, v41 :: v_dual_add_f32 v10, v12, v10
	v_mul_f32_e32 v12, 0x3f68dda4, v24
	v_fmamk_f32 v41, v38, 0x3ed4b147, v12
	v_fma_f32 v12, 0x3ed4b147, v38, -v12
	v_mul_f32_e32 v39, 0xbf7d64f0, v24
	s_delay_alu instid0(VALU_DEP_3) | instskip(NEXT) | instid1(VALU_DEP_3)
	v_add_f32_e32 v20, v41, v20
	v_add_f32_e32 v12, v12, v18
	v_sub_f32_e32 v18, v9, v17
	v_add_f32_e32 v37, v37, v40
	v_fmamk_f32 v13, v38, 0xbe11bafb, v39
	v_mul_f32_e32 v40, 0x3e903f40, v24
	v_fma_f32 v39, 0xbe11bafb, v38, -v39
	v_mul_f32_e32 v41, 0xbf4178ce, v18
	s_delay_alu instid0(VALU_DEP_4) | instskip(NEXT) | instid1(VALU_DEP_3)
	v_add_f32_e32 v11, v13, v11
	v_dual_fmamk_f32 v13, v38, 0xbf75a155, v40 :: v_dual_add_f32 v14, v39, v14
	v_fma_f32 v39, 0xbf75a155, v38, -v40
	v_mul_f32_e32 v40, 0xbf0a6770, v24
	s_delay_alu instid0(VALU_DEP_2) | instskip(NEXT) | instid1(VALU_DEP_1)
	v_dual_mul_f32 v24, 0xbf4178ce, v24 :: v_dual_add_f32 v15, v39, v15
	v_fmamk_f32 v39, v38, 0xbf27a4f4, v24
	v_fma_f32 v24, 0xbf27a4f4, v38, -v24
	s_delay_alu instid0(VALU_DEP_1) | instskip(SKIP_1) | instid1(VALU_DEP_1)
	v_dual_add_f32 v21, v39, v21 :: v_dual_add_f32 v10, v24, v10
	v_dual_add_f32 v13, v13, v36 :: v_dual_fmamk_f32 v36, v38, 0x3f575c64, v40
	v_dual_mul_f32 v39, 0xbf0a6770, v18 :: v_dual_add_f32 v36, v36, v37
	v_fma_f32 v37, 0x3f575c64, v38, -v40
	s_delay_alu instid0(VALU_DEP_1) | instskip(NEXT) | instid1(VALU_DEP_1)
	v_dual_add_f32 v40, v8, v16 :: v_dual_add_f32 v19, v37, v19
	v_fmamk_f32 v38, v40, 0xbf27a4f4, v41
	v_mul_f32_e32 v37, 0x3f7d64f0, v18
	s_delay_alu instid0(VALU_DEP_2) | instskip(SKIP_1) | instid1(VALU_DEP_1)
	v_add_f32_e32 v11, v38, v11
	v_fma_f32 v38, 0x3f575c64, v40, -v39
	v_add_f32_e32 v12, v38, v12
	v_fma_f32 v24, 0xbf27a4f4, v40, -v41
	v_fmamk_f32 v41, v40, 0xbe11bafb, v37
	v_fma_f32 v37, 0xbe11bafb, v40, -v37
	s_delay_alu instid0(VALU_DEP_3) | instskip(SKIP_1) | instid1(VALU_DEP_1)
	v_add_f32_e32 v14, v24, v14
	v_fmamk_f32 v24, v40, 0x3f575c64, v39
	v_add_f32_e32 v20, v24, v20
	v_sub_f32_e32 v24, v5, v7
	v_add_f32_e32 v15, v37, v15
	v_mul_f32_e32 v37, 0xbe903f40, v18
	v_mul_f32_e32 v18, 0x3f68dda4, v18
	s_delay_alu instid0(VALU_DEP_4) | instskip(NEXT) | instid1(VALU_DEP_3)
	v_mul_f32_e32 v42, 0xbe903f40, v24
	v_fmamk_f32 v38, v40, 0xbf75a155, v37
	v_fma_f32 v37, 0xbf75a155, v40, -v37
	s_delay_alu instid0(VALU_DEP_1) | instskip(SKIP_4) | instid1(VALU_DEP_3)
	v_dual_add_f32 v36, v38, v36 :: v_dual_add_f32 v19, v37, v19
	v_fmamk_f32 v39, v40, 0x3ed4b147, v18
	v_fma_f32 v18, 0x3ed4b147, v40, -v18
	v_mul_f32_e32 v38, 0x3f0a6770, v24
	v_mul_f32_e32 v40, 0xbf4178ce, v24
	v_dual_add_f32 v10, v18, v10 :: v_dual_add_f32 v13, v41, v13
	v_add_f32_e32 v41, v4, v6
	v_add_f32_e32 v21, v39, v21
	s_delay_alu instid0(VALU_DEP_2) | instskip(SKIP_1) | instid1(VALU_DEP_2)
	v_fmamk_f32 v37, v41, 0xbf75a155, v42
	v_fma_f32 v18, 0xbf75a155, v41, -v42
	v_add_f32_e32 v11, v37, v11
	v_fmamk_f32 v37, v41, 0x3f575c64, v38
	v_fma_f32 v38, 0x3f575c64, v41, -v38
	s_delay_alu instid0(VALU_DEP_4) | instskip(SKIP_1) | instid1(VALU_DEP_3)
	v_dual_add_f32 v39, v18, v14 :: v_dual_fmamk_f32 v14, v41, 0xbf27a4f4, v40
	v_mul_f32_e32 v18, 0x3f68dda4, v24
	v_dual_mul_f32 v24, 0xbf7d64f0, v24 :: v_dual_add_f32 v15, v38, v15
	s_delay_alu instid0(VALU_DEP_3) | instskip(NEXT) | instid1(VALU_DEP_3)
	v_dual_add_f32 v13, v37, v13 :: v_dual_add_f32 v14, v14, v20
	v_fmamk_f32 v20, v41, 0x3ed4b147, v18
	s_delay_alu instid0(VALU_DEP_3)
	v_fmamk_f32 v38, v41, 0xbe11bafb, v24
	v_fma_f32 v18, 0x3ed4b147, v41, -v18
	v_fma_f32 v37, 0xbf27a4f4, v41, -v40
	;; [unrolled: 1-line block ×3, first 2 shown]
	v_mad_u32_u24 v24, v0, 44, 0
	v_add_f32_e32 v20, v20, v36
	v_add_f32_e32 v18, v18, v19
	v_dual_add_f32 v19, v38, v21 :: v_dual_add_f32 v12, v37, v12
	v_add_f32_e32 v10, v40, v10
	ds_store_2addr_b32 v24, v1, v11 offset1:1
	ds_store_2addr_b32 v24, v13, v14 offset0:2 offset1:3
	ds_store_2addr_b32 v24, v20, v19 offset0:4 offset1:5
	;; [unrolled: 1-line block ×4, first 2 shown]
	ds_store_b32 v24, v39 offset:40
	v_mad_i32_i24 v1, 0xffffffd8, v0, v24
	global_wb scope:SCOPE_SE
	s_wait_dscnt 0x0
	s_barrier_signal -1
	s_barrier_wait -1
	global_inv scope:SCOPE_SE
	v_add_nc_u32_e32 v36, 0x980, v1
	v_add_nc_u32_e32 v37, 0xf00, v1
	;; [unrolled: 1-line block ×4, first 2 shown]
	ds_load_2addr_b32 v[18:19], v1 offset1:154
	ds_load_2addr_b32 v[14:15], v36 offset0:8 offset1:239
	ds_load_2addr_b32 v[12:13], v37 offset0:41 offset1:195
	;; [unrolled: 1-line block ×4, first 2 shown]
                                        ; implicit-def: $vgpr40
	s_and_saveexec_b32 s1, s0
	s_cbranch_execz .LBB0_13
; %bb.12:
	ds_load_b32 v39, v1 offset:3080
	ds_load_b32 v40, v1 offset:6468
.LBB0_13:
	s_wait_alu 0xfffe
	s_or_b32 exec_lo, exec_lo, s1
	v_dual_add_f32 v41, v35, v25 :: v_dual_sub_f32 v30, v34, v30
	v_sub_f32_e32 v28, v32, v28
	v_dual_add_f32 v34, v35, v31 :: v_dual_add_f32 v35, v33, v29
	s_delay_alu instid0(VALU_DEP_3)
	v_dual_add_f32 v32, v33, v41 :: v_dual_mul_f32 v41, 0xbf68dda4, v30
	v_mul_f32_e32 v43, 0xbf7d64f0, v30
	v_mul_f32_e32 v33, 0xbf0a6770, v30
	global_wb scope:SCOPE_SE
	s_wait_dscnt 0x0
	v_add_f32_e32 v32, v23, v32
	v_fma_f32 v49, 0x3ed4b147, v34, -v41
	v_fma_f32 v50, 0xbe11bafb, v34, -v43
	;; [unrolled: 1-line block ×3, first 2 shown]
	v_mul_f32_e32 v45, 0xbf68dda4, v28
	v_dual_add_f32 v32, v9, v32 :: v_dual_fmac_f32 v33, 0x3f575c64, v34
	v_fmac_f32_e32 v41, 0x3ed4b147, v34
	v_mul_f32_e32 v44, 0xbf4178ce, v30
	v_dual_mul_f32 v30, 0xbe903f40, v30 :: v_dual_add_f32 v49, v49, v25
	s_delay_alu instid0(VALU_DEP_4) | instskip(SKIP_1) | instid1(VALU_DEP_3)
	v_dual_add_f32 v32, v5, v32 :: v_dual_fmac_f32 v43, 0xbe11bafb, v34
	v_add_f32_e32 v48, v48, v25
	v_fma_f32 v52, 0xbf75a155, v34, -v30
	s_delay_alu instid0(VALU_DEP_3) | instskip(SKIP_4) | instid1(VALU_DEP_4)
	v_dual_add_f32 v33, v33, v25 :: v_dual_add_f32 v32, v7, v32
	v_fma_f32 v51, 0xbf27a4f4, v34, -v44
	v_dual_fmac_f32 v44, 0xbf27a4f4, v34 :: v_dual_add_f32 v43, v43, v25
	v_fmac_f32_e32 v30, 0xbf75a155, v34
	v_fma_f32 v34, 0x3ed4b147, v35, -v45
	v_add_f32_e32 v51, v51, v25
	v_dual_fmac_f32 v45, 0x3ed4b147, v35 :: v_dual_add_f32 v32, v17, v32
	v_dual_mul_f32 v46, 0xbf4178ce, v28 :: v_dual_add_f32 v41, v41, v25
	v_dual_mul_f32 v47, 0x3e903f40, v28 :: v_dual_add_f32 v50, v50, v25
	s_delay_alu instid0(VALU_DEP_3) | instskip(NEXT) | instid1(VALU_DEP_3)
	v_add_f32_e32 v32, v27, v32
	v_fma_f32 v53, 0xbf27a4f4, v35, -v46
	v_fmac_f32_e32 v46, 0xbf27a4f4, v35
	s_barrier_signal -1
	s_barrier_wait -1
	v_dual_add_f32 v29, v29, v32 :: v_dual_add_f32 v32, v44, v25
	v_add_f32_e32 v44, v52, v25
	v_add_f32_e32 v25, v30, v25
	s_delay_alu instid0(VALU_DEP_3)
	v_dual_add_f32 v30, v34, v48 :: v_dual_add_f32 v29, v31, v29
	v_add_f32_e32 v31, v45, v33
	v_fma_f32 v33, 0xbf75a155, v35, -v47
	v_dual_fmac_f32 v47, 0xbf75a155, v35 :: v_dual_add_f32 v34, v53, v49
	v_mul_f32_e32 v45, 0x3f7d64f0, v28
	v_dual_add_f32 v41, v46, v41 :: v_dual_mul_f32 v28, 0x3f0a6770, v28
	s_delay_alu instid0(VALU_DEP_3) | instskip(NEXT) | instid1(VALU_DEP_3)
	v_dual_add_f32 v43, v47, v43 :: v_dual_sub_f32 v22, v22, v26
	v_fma_f32 v26, 0xbe11bafb, v35, -v45
	v_fmac_f32_e32 v45, 0xbe11bafb, v35
	s_delay_alu instid0(VALU_DEP_4)
	v_fma_f32 v46, 0x3f575c64, v35, -v28
	v_add_f32_e32 v23, v23, v27
	v_mul_f32_e32 v27, 0xbf7d64f0, v22
	v_fmac_f32_e32 v28, 0x3f575c64, v35
	v_sub_f32_e32 v8, v8, v16
	v_add_f32_e32 v35, v46, v44
	v_dual_add_f32 v33, v33, v50 :: v_dual_add_f32 v26, v26, v51
	v_fma_f32 v44, 0xbe11bafb, v23, -v27
	v_dual_add_f32 v25, v28, v25 :: v_dual_mul_f32 v28, 0x3f68dda4, v22
	global_inv scope:SCOPE_SE
	v_mul_f32_e32 v16, 0xbf4178ce, v22
	v_add_f32_e32 v30, v44, v30
	v_dual_add_f32 v32, v45, v32 :: v_dual_mul_f32 v45, 0x3e903f40, v22
	v_dual_add_f32 v9, v9, v17 :: v_dual_sub_f32 v4, v4, v6
	v_add_f32_e32 v5, v5, v7
	s_delay_alu instid0(VALU_DEP_3) | instskip(NEXT) | instid1(VALU_DEP_1)
	v_fma_f32 v44, 0xbf75a155, v23, -v45
	v_dual_fmac_f32 v27, 0xbe11bafb, v23 :: v_dual_add_f32 v34, v44, v34
	s_delay_alu instid0(VALU_DEP_1) | instskip(SKIP_1) | instid1(VALU_DEP_2)
	v_dual_add_f32 v27, v27, v31 :: v_dual_mul_f32 v44, 0xbf0a6770, v22
	v_fma_f32 v31, 0x3ed4b147, v23, -v28
	v_fma_f32 v22, 0x3f575c64, v23, -v44
	s_delay_alu instid0(VALU_DEP_2) | instskip(SKIP_2) | instid1(VALU_DEP_4)
	v_dual_add_f32 v31, v31, v33 :: v_dual_fmac_f32 v44, 0x3f575c64, v23
	v_fma_f32 v33, 0xbf27a4f4, v23, -v16
	v_mul_f32_e32 v17, 0xbf4178ce, v8
	v_dual_fmac_f32 v45, 0xbf75a155, v23 :: v_dual_add_f32 v22, v22, v26
	v_fmac_f32_e32 v28, 0x3ed4b147, v23
	v_add_f32_e32 v26, v44, v32
	v_fmac_f32_e32 v16, 0xbf27a4f4, v23
	v_add_f32_e32 v32, v33, v35
	v_fma_f32 v23, 0xbf27a4f4, v9, -v17
	v_fmac_f32_e32 v17, 0xbf27a4f4, v9
	v_dual_add_f32 v41, v45, v41 :: v_dual_add_f32 v28, v28, v43
	s_delay_alu instid0(VALU_DEP_3) | instskip(SKIP_1) | instid1(VALU_DEP_4)
	v_add_f32_e32 v23, v23, v30
	v_dual_mul_f32 v33, 0x3f7d64f0, v8 :: v_dual_add_f32 v16, v16, v25
	v_add_f32_e32 v17, v17, v27
	v_mul_f32_e32 v27, 0xbe903f40, v8
	s_delay_alu instid0(VALU_DEP_3) | instskip(SKIP_2) | instid1(VALU_DEP_3)
	v_fma_f32 v30, 0xbe11bafb, v9, -v33
	v_mul_f32_e32 v25, 0xbf0a6770, v8
	v_mul_f32_e32 v8, 0x3f68dda4, v8
	v_dual_fmac_f32 v33, 0xbe11bafb, v9 :: v_dual_add_f32 v30, v30, v34
	s_delay_alu instid0(VALU_DEP_3) | instskip(SKIP_1) | instid1(VALU_DEP_3)
	v_fma_f32 v35, 0x3f575c64, v9, -v25
	v_fma_f32 v34, 0xbf75a155, v9, -v27
	v_add_f32_e32 v33, v33, v41
	s_delay_alu instid0(VALU_DEP_2) | instskip(SKIP_3) | instid1(VALU_DEP_3)
	v_dual_add_f32 v31, v35, v31 :: v_dual_add_f32 v6, v34, v22
	v_fma_f32 v22, 0x3ed4b147, v9, -v8
	v_fmac_f32_e32 v8, 0x3ed4b147, v9
	v_fmac_f32_e32 v27, 0xbf75a155, v9
	v_dual_fmac_f32 v25, 0x3f575c64, v9 :: v_dual_add_f32 v22, v22, v32
	s_delay_alu instid0(VALU_DEP_2) | instskip(SKIP_2) | instid1(VALU_DEP_4)
	v_dual_add_f32 v8, v8, v16 :: v_dual_add_f32 v9, v27, v26
	v_mul_f32_e32 v26, 0x3f0a6770, v4
	v_mul_f32_e32 v16, 0xbf4178ce, v4
	v_add_f32_e32 v25, v25, v28
	s_delay_alu instid0(VALU_DEP_3) | instskip(SKIP_1) | instid1(VALU_DEP_1)
	v_fma_f32 v28, 0x3f575c64, v5, -v26
	v_fmac_f32_e32 v26, 0x3f575c64, v5
	v_dual_mul_f32 v7, 0xbe903f40, v4 :: v_dual_add_f32 v26, v26, v33
	s_delay_alu instid0(VALU_DEP_1) | instskip(SKIP_1) | instid1(VALU_DEP_2)
	v_fma_f32 v27, 0xbf75a155, v5, -v7
	v_fmac_f32_e32 v7, 0xbf75a155, v5
	v_add_f32_e32 v23, v27, v23
	v_mul_f32_e32 v27, 0x3f68dda4, v4
	s_delay_alu instid0(VALU_DEP_3) | instskip(SKIP_2) | instid1(VALU_DEP_4)
	v_dual_mul_f32 v4, 0xbf7d64f0, v4 :: v_dual_add_f32 v41, v7, v17
	v_fma_f32 v7, 0xbf27a4f4, v5, -v16
	v_dual_add_f32 v17, v28, v30 :: v_dual_fmac_f32 v16, 0xbf27a4f4, v5
	v_fma_f32 v28, 0x3ed4b147, v5, -v27
	s_delay_alu instid0(VALU_DEP_4)
	v_fma_f32 v30, 0xbe11bafb, v5, -v4
	v_fmac_f32_e32 v4, 0xbe11bafb, v5
	v_fmac_f32_e32 v27, 0x3ed4b147, v5
	v_add_f32_e32 v7, v7, v31
	v_add_f32_e32 v5, v16, v25
	v_add_f32_e32 v6, v28, v6
	v_add_f32_e32 v4, v4, v8
	v_dual_add_f32 v16, v30, v22 :: v_dual_add_f32 v9, v27, v9
	ds_store_2addr_b32 v24, v29, v23 offset1:1
	ds_store_2addr_b32 v24, v17, v7 offset0:2 offset1:3
	ds_store_2addr_b32 v24, v6, v16 offset0:4 offset1:5
	;; [unrolled: 1-line block ×4, first 2 shown]
	ds_store_b32 v24, v41 offset:40
	global_wb scope:SCOPE_SE
	s_wait_dscnt 0x0
	s_barrier_signal -1
	s_barrier_wait -1
	global_inv scope:SCOPE_SE
	ds_load_2addr_b32 v[7:8], v1 offset1:154
	ds_load_2addr_b32 v[5:6], v36 offset0:8 offset1:239
	ds_load_2addr_b32 v[16:17], v37 offset0:41 offset1:195
	;; [unrolled: 1-line block ×4, first 2 shown]
                                        ; implicit-def: $vgpr9
	s_and_saveexec_b32 s1, s0
	s_cbranch_execz .LBB0_15
; %bb.14:
	ds_load_b32 v41, v1 offset:3080
	ds_load_b32 v9, v1 offset:6468
.LBB0_15:
	s_wait_alu 0xfffe
	s_or_b32 exec_lo, exec_lo, s1
	v_and_b32_e32 v4, 0xff, v0
	v_add_nc_u32_e32 v28, 0x268, v0
	v_add_nc_u32_e32 v26, 0x134, v0
	;; [unrolled: 1-line block ×4, first 2 shown]
	v_mul_lo_u16 v4, 0x75, v4
	v_and_b32_e32 v34, 0xffff, v28
	v_and_b32_e32 v31, 0xffff, v26
	;; [unrolled: 1-line block ×4, first 2 shown]
	v_lshrrev_b16 v4, 8, v4
	v_mul_u32_u24_e32 v34, 0xba2f, v34
	v_mul_u32_u24_e32 v31, 0xba2f, v31
	;; [unrolled: 1-line block ×4, first 2 shown]
	v_sub_nc_u16 v32, v0, v4
	v_lshrrev_b32_e32 v45, 19, v34
	v_lshrrev_b32_e32 v43, 19, v31
	;; [unrolled: 1-line block ×4, first 2 shown]
	v_lshrrev_b16 v32, 1, v32
	v_mul_u32_u24_e32 v56, 0x58, v45
	v_mul_lo_u16 v31, v43, 11
	v_mul_lo_u16 v33, v44, 11
	;; [unrolled: 1-line block ×3, first 2 shown]
	v_and_b32_e32 v32, 0x7f, v32
	v_mul_u32_u24_e32 v55, 0x58, v44
	v_sub_nc_u16 v26, v26, v31
	v_sub_nc_u16 v27, v27, v33
	;; [unrolled: 1-line block ×3, first 2 shown]
	v_add_nc_u16 v4, v32, v4
	v_mul_lo_u16 v32, v45, 11
	v_and_b32_e32 v49, 0xffff, v26
	v_and_b32_e32 v52, 0xffff, v27
	;; [unrolled: 1-line block ×3, first 2 shown]
	v_lshrrev_b16 v4, 3, v4
	v_sub_nc_u16 v28, v28, v32
	v_lshlrev_b32_e32 v45, 2, v49
	v_lshlrev_b32_e32 v34, 3, v52
	v_mul_u32_u24_e32 v54, 0x58, v43
	v_mul_lo_u16 v32, v4, 11
	v_and_b32_e32 v47, 0xffff, v28
	v_and_b32_e32 v4, 0xffff, v4
	v_lshlrev_b32_e32 v43, 2, v50
	s_delay_alu instid0(VALU_DEP_4) | instskip(NEXT) | instid1(VALU_DEP_4)
	v_sub_nc_u16 v28, v0, v32
	v_lshlrev_b32_e32 v26, 3, v47
	v_lshlrev_b32_e32 v32, 3, v49
	v_mul_u32_u24_e32 v4, 0x58, v4
	s_delay_alu instid0(VALU_DEP_4)
	v_and_b32_e32 v51, 0xff, v28
	global_load_b64 v[26:27], v26, s[4:5]
	v_lshlrev_b32_e32 v28, 3, v50
	v_lshlrev_b32_e32 v31, 3, v51
	s_wait_loadcnt_dscnt 0x0
	v_dual_mul_f32 v49, v25, v27 :: v_dual_add_nc_u32 v38, 0x9a, v0
	s_delay_alu instid0(VALU_DEP_1) | instskip(NEXT) | instid1(VALU_DEP_1)
	v_fmac_f32_e32 v49, v11, v26
	v_dual_sub_f32 v49, v14, v49 :: v_dual_and_b32 v30, 0xffff, v38
	s_delay_alu instid0(VALU_DEP_1) | instskip(NEXT) | instid1(VALU_DEP_2)
	v_mul_u32_u24_e32 v30, 0xba2f, v30
	v_fma_f32 v14, v14, 2.0, -v49
	s_delay_alu instid0(VALU_DEP_2) | instskip(NEXT) | instid1(VALU_DEP_1)
	v_lshrrev_b32_e32 v42, 19, v30
	v_mul_lo_u16 v30, v42, 11
	v_mul_u32_u24_e32 v53, 0x58, v42
	v_mul_lo_u16 v42, v46, 22
	v_lshlrev_b32_e32 v46, 2, v52
	s_delay_alu instid0(VALU_DEP_4) | instskip(NEXT) | instid1(VALU_DEP_2)
	v_sub_nc_u16 v30, v38, v30
	v_add3_u32 v46, 0, v55, v46
	s_delay_alu instid0(VALU_DEP_2) | instskip(NEXT) | instid1(VALU_DEP_1)
	v_and_b32_e32 v48, 0xffff, v30
	v_lshlrev_b32_e32 v30, 3, v48
	s_clause 0x4
	global_load_b64 v[28:29], v28, s[4:5]
	global_load_b64 v[36:37], v31, s[4:5]
	;; [unrolled: 1-line block ×5, first 2 shown]
	v_lshlrev_b32_e32 v44, 2, v48
	v_lshlrev_b32_e32 v48, 2, v51
	global_wb scope:SCOPE_SE
	s_wait_loadcnt 0x0
	s_barrier_signal -1
	s_barrier_wait -1
	v_add3_u32 v44, 0, v53, v44
	v_add3_u32 v48, 0, v4, v48
	global_inv scope:SCOPE_SE
	v_mul_f32_e32 v4, v9, v29
	v_dual_mul_f32 v50, v6, v37 :: v_dual_mul_f32 v51, v16, v31
	v_dual_mul_f32 v52, v17, v33 :: v_dual_mul_f32 v53, v24, v35
	s_delay_alu instid0(VALU_DEP_3) | instskip(NEXT) | instid1(VALU_DEP_3)
	v_fmac_f32_e32 v4, v40, v28
	v_dual_fmac_f32 v50, v15, v36 :: v_dual_fmac_f32 v51, v12, v30
	s_delay_alu instid0(VALU_DEP_3) | instskip(NEXT) | instid1(VALU_DEP_3)
	v_dual_fmac_f32 v52, v13, v32 :: v_dual_fmac_f32 v53, v10, v34
	v_sub_f32_e32 v4, v39, v4
	s_delay_alu instid0(VALU_DEP_3) | instskip(NEXT) | instid1(VALU_DEP_3)
	v_dual_sub_f32 v50, v18, v50 :: v_dual_sub_f32 v51, v19, v51
	v_dual_sub_f32 v52, v20, v52 :: v_dual_lshlrev_b32 v47, 2, v47
	s_delay_alu instid0(VALU_DEP_4) | instskip(SKIP_1) | instid1(VALU_DEP_4)
	v_sub_f32_e32 v53, v21, v53
	v_add3_u32 v45, 0, v54, v45
	v_fma_f32 v18, v18, 2.0, -v50
	s_delay_alu instid0(VALU_DEP_4)
	v_add3_u32 v47, 0, v56, v47
	v_fma_f32 v19, v19, 2.0, -v51
	v_fma_f32 v20, v20, 2.0, -v52
	;; [unrolled: 1-line block ×3, first 2 shown]
	ds_store_2addr_b32 v48, v18, v50 offset1:11
	ds_store_2addr_b32 v44, v19, v51 offset1:11
	;; [unrolled: 1-line block ×5, first 2 shown]
	s_and_saveexec_b32 s1, s0
	s_cbranch_execz .LBB0_17
; %bb.16:
	v_and_b32_e32 v14, 0xffff, v42
	v_fma_f32 v18, v39, 2.0, -v4
	s_delay_alu instid0(VALU_DEP_2) | instskip(NEXT) | instid1(VALU_DEP_1)
	v_lshlrev_b32_e32 v14, 2, v14
	v_add3_u32 v14, 0, v43, v14
	ds_store_2addr_b32 v14, v18, v4 offset1:11
.LBB0_17:
	s_wait_alu 0xfffe
	s_or_b32 exec_lo, exec_lo, s1
	v_dual_mul_f32 v12, v12, v31 :: v_dual_mul_f32 v13, v13, v33
	v_dual_mul_f32 v11, v11, v27 :: v_dual_add_nc_u32 v18, 0x1200, v1
	global_wb scope:SCOPE_SE
	s_wait_dscnt 0x0
	v_fma_f32 v27, v16, v30, -v12
	v_mul_f32_e32 v14, v15, v37
	s_barrier_signal -1
	s_barrier_wait -1
	global_inv scope:SCOPE_SE
	v_sub_f32_e32 v27, v8, v27
	v_fma_f32 v6, v6, v36, -v14
	v_mul_f32_e32 v10, v10, v35
	v_mul_f32_e32 v14, v40, v29
	v_fma_f32 v26, v25, v26, -v11
	v_add_nc_u32_e32 v19, 0xe00, v1
	v_sub_f32_e32 v31, v7, v6
	v_fma_f32 v30, v24, v34, -v10
	v_add_nc_u32_e32 v25, 0x400, v1
	v_lshl_add_u32 v24, v0, 2, 0
	v_fma_f32 v29, v17, v32, -v13
	v_fma_f32 v28, v9, v28, -v14
	v_sub_f32_e32 v30, v23, v30
	ds_load_2addr_b32 v[9:10], v1 offset1:154
	v_sub_f32_e32 v26, v5, v26
	ds_load_2addr_b32 v[15:16], v25 offset0:52 offset1:206
	ds_load_b32 v20, v1 offset:2464
	ds_load_2addr_b32 v[13:14], v19 offset0:28 offset1:182
	ds_load_2addr_b32 v[11:12], v18 offset0:80 offset1:234
	ds_load_b32 v21, v24 offset:3080
	ds_load_b32 v17, v1 offset:6160
	v_dual_sub_f32 v29, v22, v29 :: v_dual_sub_f32 v6, v41, v28
	v_fma_f32 v7, v7, 2.0, -v31
	v_fma_f32 v8, v8, 2.0, -v27
	;; [unrolled: 1-line block ×3, first 2 shown]
	s_delay_alu instid0(VALU_DEP_4)
	v_fma_f32 v22, v22, 2.0, -v29
	v_fma_f32 v5, v5, 2.0, -v26
	global_wb scope:SCOPE_SE
	s_wait_dscnt 0x0
	s_barrier_signal -1
	s_barrier_wait -1
	global_inv scope:SCOPE_SE
	ds_store_2addr_b32 v48, v7, v31 offset1:11
	ds_store_2addr_b32 v44, v8, v27 offset1:11
	;; [unrolled: 1-line block ×5, first 2 shown]
	s_and_saveexec_b32 s1, s0
	s_cbranch_execz .LBB0_19
; %bb.18:
	v_and_b32_e32 v5, 0xffff, v42
	v_fma_f32 v7, v41, 2.0, -v6
	s_delay_alu instid0(VALU_DEP_2) | instskip(NEXT) | instid1(VALU_DEP_1)
	v_lshlrev_b32_e32 v5, 2, v5
	v_add3_u32 v5, 0, v43, v5
	ds_store_2addr_b32 v5, v7, v6 offset1:11
.LBB0_19:
	s_wait_alu 0xfffe
	s_or_b32 exec_lo, exec_lo, s1
	v_lshrrev_b16 v5, 1, v0
	global_wb scope:SCOPE_SE
	s_wait_dscnt 0x0
	s_barrier_signal -1
	s_barrier_wait -1
	global_inv scope:SCOPE_SE
	v_and_b32_e32 v5, 0x7f, v5
	v_cmp_gt_u32_e64 s0, 0x58, v0
	s_delay_alu instid0(VALU_DEP_2) | instskip(NEXT) | instid1(VALU_DEP_1)
	v_mul_lo_u16 v5, 0xbb, v5
	v_lshrrev_b16 v5, 11, v5
	s_delay_alu instid0(VALU_DEP_1) | instskip(NEXT) | instid1(VALU_DEP_1)
	v_mul_lo_u16 v7, v5, 22
	v_sub_nc_u16 v7, v0, v7
	s_delay_alu instid0(VALU_DEP_1) | instskip(NEXT) | instid1(VALU_DEP_1)
	v_and_b32_e32 v22, 0xff, v7
	v_mul_u32_u24_e32 v7, 10, v22
	s_delay_alu instid0(VALU_DEP_1)
	v_lshlrev_b32_e32 v7, 3, v7
	s_clause 0x4
	global_load_b128 v[27:30], v7, s[4:5] offset:88
	global_load_b128 v[33:36], v7, s[4:5] offset:104
	;; [unrolled: 1-line block ×5, first 2 shown]
	ds_load_2addr_b32 v[7:8], v1 offset1:154
	ds_load_2addr_b32 v[56:57], v25 offset0:52 offset1:206
	ds_load_b32 v62, v1 offset:2464
	ds_load_2addr_b32 v[58:59], v19 offset0:28 offset1:182
	ds_load_b32 v63, v24 offset:3080
	;; [unrolled: 2-line block ×3, first 2 shown]
	v_and_b32_e32 v5, 0xffff, v5
	v_add_nc_u32_e32 v24, 0x780, v1
	v_add_nc_u32_e32 v26, 0xf00, v1
	global_wb scope:SCOPE_SE
	s_wait_loadcnt_dscnt 0x0
	s_barrier_signal -1
	v_mul_u32_u24_e32 v5, 0x3c8, v5
	s_barrier_wait -1
	global_inv scope:SCOPE_SE
	v_mul_f32_e32 v37, v56, v30
	v_mul_f32_e32 v41, v8, v28
	v_dual_mul_f32 v18, v63, v45 :: v_dual_lshlrev_b32 v19, 2, v22
	v_dual_mul_f32 v31, v57, v34 :: v_dual_mul_f32 v32, v60, v51
	v_mul_f32_e32 v23, v62, v36
	s_delay_alu instid0(VALU_DEP_3)
	v_add3_u32 v22, 0, v5, v19
	v_dual_mul_f32 v5, v10, v28 :: v_dual_mul_f32 v28, v15, v30
	v_mul_f32_e32 v30, v16, v34
	v_mul_f32_e32 v34, v20, v36
	v_dual_mul_f32 v36, v21, v45 :: v_dual_mul_f32 v19, v58, v47
	v_fmac_f32_e32 v18, v21, v44
	v_dual_mul_f32 v45, v13, v47 :: v_dual_fmac_f32 v32, v11, v50
	v_dual_mul_f32 v25, v59, v49 :: v_dual_mul_f32 v42, v64, v55
	v_mul_f32_e32 v47, v14, v49
	v_fma_f32 v43, v8, v27, -v5
	v_fmac_f32_e32 v31, v16, v33
	v_fma_f32 v33, v57, v33, -v30
	v_fmac_f32_e32 v42, v17, v54
	;; [unrolled: 2-line block ×3, first 2 shown]
	v_fma_f32 v27, v62, v35, -v34
	v_mul_f32_e32 v39, v61, v53
	v_fma_f32 v40, v56, v29, -v28
	v_fmac_f32_e32 v23, v20, v35
	v_fma_f32 v20, v63, v44, -v36
	v_sub_f32_e32 v16, v27, v30
	v_dual_mul_f32 v49, v11, v51 :: v_dual_add_f32 v8, v41, v42
	v_fmac_f32_e32 v25, v14, v48
	v_fma_f32 v21, v58, v46, -v45
	v_fmac_f32_e32 v19, v13, v46
	s_delay_alu instid0(VALU_DEP_4) | instskip(SKIP_1) | instid1(VALU_DEP_4)
	v_fma_f32 v34, v60, v50, -v49
	v_dual_mul_f32 v51, v12, v53 :: v_dual_mul_f32 v56, 0x3f7d64f0, v16
	v_sub_f32_e32 v28, v20, v21
	v_mul_f32_e32 v58, 0xbe903f40, v16
	s_delay_alu instid0(VALU_DEP_4) | instskip(NEXT) | instid1(VALU_DEP_4)
	v_sub_f32_e32 v14, v33, v34
	v_fma_f32 v36, v61, v52, -v51
	v_mul_f32_e32 v53, v17, v55
	v_add_f32_e32 v17, v18, v19
	s_delay_alu instid0(VALU_DEP_2) | instskip(SKIP_1) | instid1(VALU_DEP_2)
	v_fma_f32 v35, v64, v54, -v53
	v_mul_f32_e32 v54, 0xbf0a6770, v14
	v_dual_mul_f32 v53, 0x3f68dda4, v14 :: v_dual_sub_f32 v10, v43, v35
	v_fmac_f32_e32 v37, v15, v29
	v_fmac_f32_e32 v39, v12, v52
	v_dual_sub_f32 v12, v40, v36 :: v_dual_add_f32 v5, v9, v41
	s_delay_alu instid0(VALU_DEP_4) | instskip(SKIP_1) | instid1(VALU_DEP_4)
	v_mul_f32_e32 v46, 0xbf4178ce, v10
	v_mul_f32_e32 v29, 0xbf0a6770, v10
	v_dual_mul_f32 v44, 0xbf68dda4, v10 :: v_dual_add_f32 v11, v37, v39
	s_delay_alu instid0(VALU_DEP_4)
	v_mul_f32_e32 v50, 0x3f7d64f0, v12
	v_mul_f32_e32 v45, 0xbf7d64f0, v10
	v_dual_mul_f32 v48, 0xbf4178ce, v12 :: v_dual_add_f32 v5, v5, v37
	v_fmamk_f32 v66, v8, 0xbf27a4f4, v46
	v_fma_f32 v46, 0xbf27a4f4, v8, -v46
	v_dual_add_f32 v13, v31, v32 :: v_dual_mul_f32 v10, 0xbe903f40, v10
	v_dual_mul_f32 v49, 0x3e903f40, v12 :: v_dual_mul_f32 v52, 0x3e903f40, v14
	s_delay_alu instid0(VALU_DEP_3)
	v_dual_add_f32 v46, v9, v46 :: v_dual_add_f32 v15, v23, v25
	v_dual_mul_f32 v60, 0x3f0a6770, v28 :: v_dual_add_f32 v5, v5, v31
	v_mul_f32_e32 v62, 0x3f68dda4, v28
	v_fmamk_f32 v64, v8, 0x3ed4b147, v44
	v_fma_f32 v44, 0x3ed4b147, v8, -v44
	v_mul_f32_e32 v51, 0xbf7d64f0, v14
	v_mul_f32_e32 v14, 0xbf4178ce, v14
	v_dual_fmamk_f32 v63, v8, 0x3f575c64, v29 :: v_dual_fmamk_f32 v74, v13, 0x3f575c64, v54
	v_fma_f32 v29, 0x3f575c64, v8, -v29
	v_fmamk_f32 v68, v11, 0xbf27a4f4, v48
	v_mul_f32_e32 v59, 0xbe903f40, v28
	v_fmamk_f32 v70, v11, 0xbe11bafb, v50
	v_fma_f32 v50, 0xbe11bafb, v11, -v50
	v_mul_f32_e32 v61, 0xbf4178ce, v28
	v_mul_f32_e32 v28, 0xbf7d64f0, v28
	v_fmamk_f32 v65, v8, 0xbe11bafb, v45
	v_mul_f32_e32 v47, 0xbf68dda4, v12
	v_mul_f32_e32 v12, 0x3f0a6770, v12
	v_fma_f32 v45, 0xbe11bafb, v8, -v45
	v_fmamk_f32 v67, v8, 0xbf75a155, v10
	v_mul_f32_e32 v55, 0xbf4178ce, v16
	v_fma_f32 v8, 0xbf75a155, v8, -v10
	v_dual_fmamk_f32 v10, v11, 0x3ed4b147, v47 :: v_dual_add_f32 v29, v9, v29
	v_fma_f32 v47, 0x3ed4b147, v11, -v47
	v_mul_f32_e32 v57, 0xbf0a6770, v16
	v_mul_f32_e32 v16, 0x3f68dda4, v16
	v_fma_f32 v48, 0xbf27a4f4, v11, -v48
	v_dual_fmamk_f32 v69, v11, 0xbf75a155, v49 :: v_dual_fmamk_f32 v72, v13, 0xbf75a155, v52
	v_fma_f32 v49, 0xbf75a155, v11, -v49
	v_dual_fmamk_f32 v71, v11, 0x3f575c64, v12 :: v_dual_add_f32 v8, v9, v8
	v_fma_f32 v11, 0x3f575c64, v11, -v12
	v_fma_f32 v52, 0xbf75a155, v13, -v52
	v_fmamk_f32 v73, v13, 0x3ed4b147, v53
	v_fma_f32 v53, 0x3ed4b147, v13, -v53
	v_fma_f32 v54, 0x3f575c64, v13, -v54
	v_fmamk_f32 v75, v13, 0xbf27a4f4, v14
	v_fmamk_f32 v76, v15, 0xbe11bafb, v56
	v_fma_f32 v56, 0xbe11bafb, v15, -v56
	v_dual_fmamk_f32 v77, v15, 0x3f575c64, v57 :: v_dual_fmamk_f32 v80, v17, 0x3f575c64, v60
	v_fma_f32 v57, 0x3f575c64, v15, -v57
	v_fmamk_f32 v79, v15, 0x3ed4b147, v16
	v_fma_f32 v60, 0x3f575c64, v17, -v60
	v_fmamk_f32 v83, v17, 0xbe11bafb, v28
	v_add_f32_e32 v5, v5, v23
	v_add_f32_e32 v44, v9, v44
	v_fmamk_f32 v12, v13, 0xbe11bafb, v51
	v_fma_f32 v51, 0xbe11bafb, v13, -v51
	v_fma_f32 v13, 0xbf27a4f4, v13, -v14
	v_fmamk_f32 v14, v15, 0xbf27a4f4, v55
	v_fma_f32 v55, 0xbf27a4f4, v15, -v55
	v_fmamk_f32 v82, v17, 0x3ed4b147, v62
	v_fma_f32 v62, 0x3ed4b147, v17, -v62
	v_dual_add_f32 v46, v50, v46 :: v_dual_fmamk_f32 v81, v17, 0xbf27a4f4, v61
	v_fmamk_f32 v78, v15, 0xbf75a155, v58
	v_fma_f32 v58, 0xbf75a155, v15, -v58
	v_fma_f32 v15, 0x3ed4b147, v15, -v16
	v_fmamk_f32 v16, v17, 0xbf75a155, v59
	v_fma_f32 v59, 0xbf75a155, v17, -v59
	v_fma_f32 v61, 0xbf27a4f4, v17, -v61
	;; [unrolled: 1-line block ×3, first 2 shown]
	v_add_f32_e32 v28, v9, v63
	v_add_f32_e32 v63, v9, v64
	;; [unrolled: 1-line block ×6, first 2 shown]
	v_dual_add_f32 v5, v5, v18 :: v_dual_add_f32 v8, v11, v8
	v_dual_add_f32 v9, v10, v28 :: v_dual_add_f32 v10, v47, v29
	v_add_f32_e32 v28, v68, v63
	v_add_f32_e32 v29, v48, v44
	;; [unrolled: 1-line block ×3, first 2 shown]
	s_delay_alu instid0(VALU_DEP_4) | instskip(SKIP_3) | instid1(VALU_DEP_4)
	v_dual_add_f32 v45, v49, v45 :: v_dual_add_f32 v10, v51, v10
	v_add_f32_e32 v47, v70, v65
	v_add_f32_e32 v5, v5, v19
	v_dual_add_f32 v9, v12, v9 :: v_dual_add_f32 v48, v71, v66
	v_dual_add_f32 v11, v72, v28 :: v_dual_add_f32 v10, v55, v10
	v_add_f32_e32 v12, v52, v29
	v_add_f32_e32 v28, v73, v44
	v_dual_add_f32 v29, v53, v45 :: v_dual_add_f32 v44, v74, v47
	s_delay_alu instid0(VALU_DEP_3) | instskip(NEXT) | instid1(VALU_DEP_3)
	v_dual_add_f32 v5, v5, v25 :: v_dual_add_f32 v12, v56, v12
	v_dual_add_f32 v9, v14, v9 :: v_dual_add_f32 v14, v77, v28
	;; [unrolled: 1-line block ×5, first 2 shown]
	s_delay_alu instid0(VALU_DEP_4) | instskip(NEXT) | instid1(VALU_DEP_3)
	v_dual_add_f32 v16, v16, v9 :: v_dual_add_f32 v5, v5, v32
	v_dual_add_f32 v44, v58, v45 :: v_dual_add_f32 v45, v79, v46
	v_add_f32_e32 v15, v15, v8
	v_dual_add_f32 v11, v59, v10 :: v_dual_add_f32 v10, v60, v12
	v_add_f32_e32 v12, v81, v14
	v_dual_add_f32 v14, v82, v29 :: v_dual_add_f32 v5, v5, v39
	v_dual_add_f32 v13, v80, v13 :: v_dual_add_f32 v8, v62, v44
	v_add_f32_e32 v29, v83, v45
	v_add_f32_e32 v15, v17, v15
	;; [unrolled: 1-line block ×4, first 2 shown]
	ds_store_2addr_b32 v22, v13, v12 offset0:44 offset1:66
	ds_store_2addr_b32 v22, v14, v29 offset0:88 offset1:110
	;; [unrolled: 1-line block ×4, first 2 shown]
	ds_store_b32 v22, v11 offset:880
	ds_store_2addr_b32 v22, v5, v16 offset1:22
	global_wb scope:SCOPE_SE
	s_wait_dscnt 0x0
	s_barrier_signal -1
	s_barrier_wait -1
	global_inv scope:SCOPE_SE
	ds_load_2addr_b32 v[12:13], v1 offset1:242
	ds_load_2addr_b32 v[14:15], v24 offset0:4 offset1:246
	ds_load_2addr_b32 v[16:17], v26 offset0:8 offset1:250
	ds_load_b32 v29, v1 offset:5808
                                        ; implicit-def: $vgpr28
	s_and_saveexec_b32 s1, s0
	s_cbranch_execz .LBB0_21
; %bb.20:
	v_add_nc_u32_e32 v4, 0x240, v1
	v_add_nc_u32_e32 v5, 0x9e0, v1
	;; [unrolled: 1-line block ×3, first 2 shown]
	ds_load_2addr_b32 v[8:9], v4 offset0:10 offset1:252
	ds_load_2addr_b32 v[10:11], v5 offset0:6 offset1:248
	;; [unrolled: 1-line block ×3, first 2 shown]
	ds_load_b32 v28, v1 offset:6424
.LBB0_21:
	s_wait_alu 0xfffe
	s_or_b32 exec_lo, exec_lo, s1
	v_dual_add_f32 v44, v7, v43 :: v_dual_sub_f32 v41, v41, v42
	v_dual_add_f32 v43, v43, v35 :: v_dual_add_f32 v42, v40, v36
	v_sub_f32_e32 v37, v37, v39
	s_delay_alu instid0(VALU_DEP_3)
	v_add_f32_e32 v39, v44, v40
	global_wb scope:SCOPE_SE
	s_wait_dscnt 0x0
	v_mul_f32_e32 v40, 0x3f575c64, v43
	v_mul_f32_e32 v44, 0x3ed4b147, v43
	v_dual_mul_f32 v48, 0xbf27a4f4, v42 :: v_dual_add_f32 v39, v39, v33
	s_barrier_signal -1
	s_barrier_wait -1
	global_inv scope:SCOPE_SE
	v_fmamk_f32 v55, v37, 0x3f4178ce, v48
	v_dual_add_f32 v39, v39, v27 :: v_dual_fmamk_f32 v50, v41, 0x3f0a6770, v40
	v_mul_f32_e32 v45, 0xbe11bafb, v43
	v_mul_f32_e32 v46, 0xbf27a4f4, v43
	s_delay_alu instid0(VALU_DEP_3) | instskip(NEXT) | instid1(VALU_DEP_4)
	v_dual_fmac_f32 v48, 0xbf4178ce, v37 :: v_dual_add_f32 v39, v39, v20
	v_add_f32_e32 v50, v7, v50
	s_delay_alu instid0(VALU_DEP_4) | instskip(NEXT) | instid1(VALU_DEP_3)
	v_fmamk_f32 v52, v41, 0x3f7d64f0, v45
	v_dual_sub_f32 v18, v18, v19 :: v_dual_add_f32 v39, v39, v21
	v_fmac_f32_e32 v40, 0xbf0a6770, v41
	s_delay_alu instid0(VALU_DEP_3) | instskip(NEXT) | instid1(VALU_DEP_3)
	v_dual_mul_f32 v49, 0xbf75a155, v42 :: v_dual_add_f32 v52, v7, v52
	v_add_f32_e32 v39, v39, v30
	s_delay_alu instid0(VALU_DEP_3) | instskip(SKIP_1) | instid1(VALU_DEP_3)
	v_dual_mul_f32 v43, 0xbf75a155, v43 :: v_dual_add_f32 v40, v7, v40
	v_fmamk_f32 v53, v41, 0x3f4178ce, v46
	v_dual_fmac_f32 v46, 0xbf4178ce, v41 :: v_dual_add_f32 v39, v39, v34
	v_fmamk_f32 v51, v41, 0x3f68dda4, v44
	s_delay_alu instid0(VALU_DEP_4) | instskip(NEXT) | instid1(VALU_DEP_3)
	v_fmamk_f32 v54, v41, 0x3e903f40, v43
	v_dual_fmac_f32 v45, 0xbf7d64f0, v41 :: v_dual_add_f32 v36, v39, v36
	s_delay_alu instid0(VALU_DEP_3) | instskip(SKIP_2) | instid1(VALU_DEP_3)
	v_dual_fmac_f32 v44, 0xbf68dda4, v41 :: v_dual_add_f32 v51, v7, v51
	v_mul_f32_e32 v47, 0x3ed4b147, v42
	v_add_f32_e32 v39, v7, v46
	v_dual_add_f32 v35, v36, v35 :: v_dual_add_f32 v44, v7, v44
	v_fmac_f32_e32 v43, 0xbe903f40, v41
	s_delay_alu instid0(VALU_DEP_4) | instskip(SKIP_1) | instid1(VALU_DEP_4)
	v_fmamk_f32 v41, v37, 0x3f68dda4, v47
	v_dual_fmac_f32 v47, 0xbf68dda4, v37 :: v_dual_add_f32 v46, v7, v54
	v_dual_add_f32 v45, v7, v45 :: v_dual_add_f32 v44, v48, v44
	s_delay_alu instid0(VALU_DEP_2) | instskip(SKIP_2) | instid1(VALU_DEP_2)
	v_add_f32_e32 v36, v47, v40
	v_dual_add_f32 v53, v7, v53 :: v_dual_fmamk_f32 v40, v37, 0xbe903f40, v49
	v_add_f32_e32 v7, v7, v43
	v_dual_fmac_f32 v49, 0x3e903f40, v37 :: v_dual_add_f32 v40, v40, v52
	v_mul_f32_e32 v47, 0xbe11bafb, v42
	v_mul_f32_e32 v42, 0x3f575c64, v42
	v_add_f32_e32 v33, v33, v34
	s_delay_alu instid0(VALU_DEP_3) | instskip(NEXT) | instid1(VALU_DEP_3)
	v_dual_sub_f32 v31, v31, v32 :: v_dual_fmamk_f32 v34, v37, 0xbf7d64f0, v47
	v_fmamk_f32 v48, v37, 0xbf0a6770, v42
	v_dual_fmac_f32 v42, 0x3f0a6770, v37 :: v_dual_add_f32 v41, v41, v50
	s_delay_alu instid0(VALU_DEP_4) | instskip(NEXT) | instid1(VALU_DEP_4)
	v_mul_f32_e32 v32, 0xbe11bafb, v33
	v_dual_add_f32 v34, v34, v53 :: v_dual_add_f32 v43, v55, v51
	s_delay_alu instid0(VALU_DEP_3) | instskip(SKIP_3) | instid1(VALU_DEP_3)
	v_dual_add_f32 v7, v42, v7 :: v_dual_mul_f32 v42, 0x3ed4b147, v33
	v_fmac_f32_e32 v47, 0x3f7d64f0, v37
	v_dual_add_f32 v27, v27, v30 :: v_dual_mul_f32 v30, 0xbf27a4f4, v33
	v_sub_f32_e32 v23, v23, v25
	v_add_f32_e32 v37, v47, v39
	v_mul_f32_e32 v47, 0xbf75a155, v33
	v_dual_add_f32 v39, v48, v46 :: v_dual_fmamk_f32 v46, v31, 0x3f7d64f0, v32
	s_delay_alu instid0(VALU_DEP_1) | instskip(NEXT) | instid1(VALU_DEP_3)
	v_dual_fmac_f32 v32, 0xbf7d64f0, v31 :: v_dual_add_f32 v41, v46, v41
	v_fmamk_f32 v46, v31, 0xbe903f40, v47
	s_delay_alu instid0(VALU_DEP_2) | instskip(SKIP_2) | instid1(VALU_DEP_3)
	v_dual_fmac_f32 v47, 0x3e903f40, v31 :: v_dual_add_f32 v32, v32, v36
	v_fmamk_f32 v36, v31, 0xbf68dda4, v42
	v_fmac_f32_e32 v42, 0x3f68dda4, v31
	v_dual_add_f32 v43, v46, v43 :: v_dual_add_f32 v44, v47, v44
	v_add_f32_e32 v45, v49, v45
	v_mul_f32_e32 v46, 0x3f575c64, v33
	v_add_f32_e32 v36, v36, v40
	s_delay_alu instid0(VALU_DEP_2) | instskip(SKIP_3) | instid1(VALU_DEP_4)
	v_dual_add_f32 v40, v42, v45 :: v_dual_fmamk_f32 v33, v31, 0x3f0a6770, v46
	v_fmac_f32_e32 v46, 0xbf0a6770, v31
	v_mul_f32_e32 v25, 0xbf27a4f4, v27
	v_fmamk_f32 v42, v31, 0x3f4178ce, v30
	v_dual_fmac_f32 v30, 0xbf4178ce, v31 :: v_dual_add_f32 v33, v33, v34
	s_delay_alu instid0(VALU_DEP_3) | instskip(NEXT) | instid1(VALU_DEP_1)
	v_dual_add_f32 v34, v46, v37 :: v_dual_fmamk_f32 v31, v23, 0x3f4178ce, v25
	v_dual_add_f32 v7, v30, v7 :: v_dual_add_f32 v30, v31, v41
	v_mul_f32_e32 v31, 0x3f575c64, v27
	v_add_f32_e32 v37, v42, v39
	v_mul_f32_e32 v39, 0xbe11bafb, v27
	s_delay_alu instid0(VALU_DEP_3) | instskip(NEXT) | instid1(VALU_DEP_1)
	v_fmamk_f32 v42, v23, 0x3f0a6770, v31
	v_dual_fmac_f32 v25, 0xbf4178ce, v23 :: v_dual_add_f32 v36, v42, v36
	v_fmac_f32_e32 v31, 0xbf0a6770, v23
	s_delay_alu instid0(VALU_DEP_2) | instskip(NEXT) | instid1(VALU_DEP_2)
	v_dual_add_f32 v25, v25, v32 :: v_dual_mul_f32 v32, 0xbf75a155, v27
	v_dual_add_f32 v31, v31, v40 :: v_dual_add_f32 v40, v20, v21
	v_fmamk_f32 v41, v23, 0xbf7d64f0, v39
	v_mul_f32_e32 v27, 0x3ed4b147, v27
	s_delay_alu instid0(VALU_DEP_3) | instskip(NEXT) | instid1(VALU_DEP_3)
	v_mul_f32_e32 v19, 0xbf75a155, v40
	v_add_f32_e32 v41, v41, v43
	v_fmamk_f32 v43, v23, 0x3e903f40, v32
	v_fmac_f32_e32 v32, 0xbe903f40, v23
	v_fmamk_f32 v20, v23, 0xbf68dda4, v27
	v_fmac_f32_e32 v27, 0x3f68dda4, v23
	;; [unrolled: 2-line block ×3, first 2 shown]
	v_add_f32_e32 v23, v32, v34
	v_add_f32_e32 v32, v20, v37
	v_mul_f32_e32 v20, 0x3f575c64, v40
	v_add_f32_e32 v30, v21, v30
	v_fmac_f32_e32 v19, 0xbe903f40, v18
	v_add_f32_e32 v7, v27, v7
	v_mul_f32_e32 v27, 0xbf27a4f4, v40
	v_dual_fmamk_f32 v34, v18, 0xbf0a6770, v20 :: v_dual_add_f32 v39, v39, v44
	s_delay_alu instid0(VALU_DEP_4) | instskip(SKIP_1) | instid1(VALU_DEP_3)
	v_dual_fmac_f32 v20, 0x3f0a6770, v18 :: v_dual_add_f32 v21, v19, v25
	v_mul_f32_e32 v37, 0xbe11bafb, v40
	v_dual_add_f32 v25, v34, v41 :: v_dual_mul_f32 v34, 0x3ed4b147, v40
	s_delay_alu instid0(VALU_DEP_3) | instskip(NEXT) | instid1(VALU_DEP_3)
	v_dual_fmamk_f32 v19, v18, 0x3f4178ce, v27 :: v_dual_add_f32 v20, v20, v39
	v_dual_add_f32 v33, v43, v33 :: v_dual_fmamk_f32 v40, v18, 0x3f7d64f0, v37
	v_fmac_f32_e32 v27, 0xbf4178ce, v18
	s_delay_alu instid0(VALU_DEP_4) | instskip(SKIP_2) | instid1(VALU_DEP_4)
	v_fmamk_f32 v39, v18, 0xbf68dda4, v34
	v_fmac_f32_e32 v34, 0x3f68dda4, v18
	v_dual_fmac_f32 v37, 0xbf7d64f0, v18 :: v_dual_add_f32 v36, v19, v36
	v_add_f32_e32 v19, v27, v31
	s_delay_alu instid0(VALU_DEP_3) | instskip(SKIP_1) | instid1(VALU_DEP_4)
	v_dual_add_f32 v27, v39, v33 :: v_dual_add_f32 v18, v34, v23
	v_add_f32_e32 v23, v40, v32
	v_add_f32_e32 v7, v37, v7
	ds_store_2addr_b32 v22, v35, v30 offset1:22
	ds_store_2addr_b32 v22, v25, v36 offset0:44 offset1:66
	ds_store_2addr_b32 v22, v27, v23 offset0:88 offset1:110
	;; [unrolled: 1-line block ×4, first 2 shown]
	ds_store_b32 v22, v21 offset:880
	global_wb scope:SCOPE_SE
	s_wait_dscnt 0x0
	s_barrier_signal -1
	s_barrier_wait -1
	global_inv scope:SCOPE_SE
	ds_load_2addr_b32 v[22:23], v1 offset1:242
	ds_load_2addr_b32 v[24:25], v24 offset0:4 offset1:246
	ds_load_2addr_b32 v[26:27], v26 offset0:8 offset1:250
	ds_load_b32 v31, v1 offset:5808
                                        ; implicit-def: $vgpr30
	s_and_saveexec_b32 s1, s0
	s_cbranch_execz .LBB0_23
; %bb.22:
	v_add_nc_u32_e32 v6, 0x240, v1
	v_add_nc_u32_e32 v7, 0x9e0, v1
	v_add_nc_u32_e32 v30, 0x1180, v1
	ds_load_2addr_b32 v[18:19], v6 offset0:10 offset1:252
	ds_load_2addr_b32 v[20:21], v7 offset0:6 offset1:248
	;; [unrolled: 1-line block ×3, first 2 shown]
	ds_load_b32 v30, v1 offset:6424
.LBB0_23:
	s_wait_alu 0xfffe
	s_or_b32 exec_lo, exec_lo, s1
	s_and_saveexec_b32 s1, vcc_lo
	s_cbranch_execz .LBB0_26
; %bb.24:
	v_mul_u32_u24_e32 v1, 6, v0
	v_add_co_u32 v2, vcc_lo, s8, v2
	s_wait_alu 0xfffd
	v_add_co_ci_u32_e32 v3, vcc_lo, s9, v3, vcc_lo
	s_delay_alu instid0(VALU_DEP_3)
	v_lshlrev_b32_e32 v1, 3, v1
	s_clause 0x2
	global_load_b128 v[32:35], v1, s[4:5] offset:1848
	global_load_b128 v[39:42], v1, s[4:5] offset:1880
	;; [unrolled: 1-line block ×3, first 2 shown]
	s_wait_loadcnt 0x1
	v_dual_mov_b32 v1, 0 :: v_dual_mul_f32 v50, v17, v39
	s_wait_loadcnt 0x0
	v_mul_f32_e32 v48, v15, v43
	s_delay_alu instid0(VALU_DEP_2)
	v_lshlrev_b64_e32 v[36:37], 3, v[0:1]
	v_mul_f32_e32 v47, v16, v45
	v_mul_f32_e32 v16, v16, v46
	s_wait_dscnt 0x1
	v_fmac_f32_e32 v50, v27, v40
	v_fmac_f32_e32 v48, v25, v44
	v_add_co_u32 v2, vcc_lo, v2, v36
	s_wait_alu 0xfffd
	v_add_co_ci_u32_e32 v3, vcc_lo, v3, v37, vcc_lo
	v_mul_f32_e32 v36, v13, v32
	v_mul_f32_e32 v37, v29, v41
	;; [unrolled: 1-line block ×3, first 2 shown]
	v_dual_mul_f32 v29, v29, v42 :: v_dual_mul_f32 v14, v14, v35
	v_mul_f32_e32 v13, v13, v33
	v_fmac_f32_e32 v36, v23, v33
	s_wait_dscnt 0x0
	v_fmac_f32_e32 v37, v31, v42
	v_mul_f32_e32 v17, v17, v40
	v_fma_f32 v29, v31, v41, -v29
	v_fma_f32 v13, v23, v32, -v13
	v_mul_f32_e32 v15, v15, v44
	v_sub_f32_e32 v23, v36, v37
	v_fmac_f32_e32 v47, v26, v46
	v_fmac_f32_e32 v49, v24, v35
	v_fma_f32 v16, v26, v45, -v16
	v_fma_f32 v14, v24, v34, -v14
	v_add_f32_e32 v26, v13, v29
	v_sub_f32_e32 v24, v47, v48
	v_fma_f32 v15, v25, v43, -v15
	v_add_f32_e32 v32, v36, v37
	v_fma_f32 v17, v27, v39, -v17
	v_add_f32_e32 v34, v49, v50
	v_sub_f32_e32 v25, v49, v50
	s_delay_alu instid0(VALU_DEP_2) | instskip(SKIP_2) | instid1(VALU_DEP_3)
	v_dual_add_f32 v31, v14, v17 :: v_dual_add_f32 v40, v32, v34
	v_dual_sub_f32 v14, v14, v17 :: v_dual_add_f32 v27, v16, v15
	v_sub_f32_e32 v15, v16, v15
	v_dual_sub_f32 v13, v13, v29 :: v_dual_add_f32 v36, v26, v31
	v_sub_f32_e32 v16, v23, v24
	v_add_f32_e32 v33, v47, v48
	s_delay_alu instid0(VALU_DEP_4)
	v_sub_f32_e32 v42, v15, v14
	v_sub_f32_e32 v35, v27, v31
	;; [unrolled: 1-line block ×3, first 2 shown]
	v_add_f32_e32 v24, v24, v25
	v_sub_f32_e32 v37, v32, v33
	v_sub_f32_e32 v29, v26, v27
	v_sub_f32_e32 v39, v33, v34
	v_dual_sub_f32 v26, v31, v26 :: v_dual_sub_f32 v41, v13, v15
	v_dual_add_f32 v15, v15, v14 :: v_dual_sub_f32 v14, v14, v13
	v_dual_add_f32 v27, v27, v36 :: v_dual_mul_f32 v36, 0x3f08b237, v42
	v_dual_sub_f32 v31, v34, v32 :: v_dual_mul_f32 v32, 0x3d64c772, v35
	v_mul_f32_e32 v17, 0x3f08b237, v17
	v_mul_f32_e32 v34, 0x3f4a47b2, v37
	s_delay_alu instid0(VALU_DEP_2)
	v_dual_fmamk_f32 v42, v16, 0xbeae86e6, v17 :: v_dual_add_f32 v15, v13, v15
	v_add_f32_e32 v33, v33, v40
	v_sub_f32_e32 v25, v25, v23
	v_dual_add_f32 v23, v23, v24 :: v_dual_mul_f32 v24, 0x3f4a47b2, v29
	v_mul_f32_e32 v35, 0x3d64c772, v39
	v_dual_mul_f32 v40, 0xbf5ff5aa, v14 :: v_dual_add_f32 v13, v22, v27
	s_delay_alu instid0(VALU_DEP_2) | instskip(SKIP_2) | instid1(VALU_DEP_1)
	v_fmamk_f32 v22, v37, 0x3f4a47b2, v35
	v_fmamk_f32 v37, v41, 0xbeae86e6, v36
	v_fma_f32 v36, 0xbf5ff5aa, v14, -v36
	v_fmac_f32_e32 v36, 0xbee1c552, v15
	v_add_f32_e32 v12, v12, v33
	v_mul_f32_e32 v39, 0xbf5ff5aa, v25
	v_fma_f32 v25, 0xbf5ff5aa, v25, -v17
	s_delay_alu instid0(VALU_DEP_2) | instskip(SKIP_4) | instid1(VALU_DEP_2)
	v_fma_f32 v39, 0x3eae86e6, v16, -v39
	v_fma_f32 v16, 0xbf3bfb3b, v26, -v24
	;; [unrolled: 1-line block ×5, first 2 shown]
	v_fmac_f32_e32 v34, 0xbee1c552, v15
	v_fmac_f32_e32 v42, 0xbee1c552, v23
	v_fmamk_f32 v17, v27, 0xbf955555, v13
	v_fmamk_f32 v27, v33, 0xbf955555, v12
	v_fmac_f32_e32 v25, 0xbee1c552, v23
	s_delay_alu instid0(VALU_DEP_3) | instskip(SKIP_1) | instid1(VALU_DEP_4)
	v_dual_fmac_f32 v39, 0xbee1c552, v23 :: v_dual_add_f32 v26, v26, v17
	v_fma_f32 v14, 0x3f3bfb3b, v31, -v35
	v_dual_add_f32 v24, v24, v27 :: v_dual_fmamk_f32 v29, v29, 0x3f4a47b2, v32
	v_dual_add_f32 v22, v22, v27 :: v_dual_add_f32 v31, v16, v17
	s_delay_alu instid0(VALU_DEP_2) | instskip(SKIP_2) | instid1(VALU_DEP_3)
	v_dual_add_f32 v33, v14, v27 :: v_dual_sub_f32 v16, v24, v34
	v_sub_f32_e32 v23, v26, v25
	v_dual_add_f32 v25, v25, v26 :: v_dual_add_f32 v26, v34, v24
	v_dual_fmac_f32 v37, 0xbee1c552, v15 :: v_dual_sub_f32 v24, v33, v36
	v_add_f32_e32 v29, v29, v17
	v_add_f32_e32 v17, v39, v31
	v_sub_f32_e32 v27, v31, v39
	s_delay_alu instid0(VALU_DEP_4) | instskip(NEXT) | instid1(VALU_DEP_4)
	v_dual_add_f32 v31, v37, v22 :: v_dual_sub_f32 v14, v22, v37
	v_sub_f32_e32 v32, v29, v42
	v_add_f32_e32 v22, v36, v33
	v_add_f32_e32 v15, v42, v29
	s_clause 0x6
	global_store_b64 v[2:3], v[12:13], off
	global_store_b64 v[2:3], v[31:32], off offset:1936
	global_store_b64 v[2:3], v[26:27], off offset:3872
	;; [unrolled: 1-line block ×6, first 2 shown]
	s_and_b32 exec_lo, exec_lo, s0
	s_cbranch_execz .LBB0_26
; %bb.25:
	v_add_nc_u32_e32 v0, 0xffffffa8, v0
	s_delay_alu instid0(VALU_DEP_1) | instskip(NEXT) | instid1(VALU_DEP_1)
	v_cndmask_b32_e64 v0, v0, v38, s0
	v_mul_i32_i24_e32 v0, 6, v0
	s_delay_alu instid0(VALU_DEP_1) | instskip(NEXT) | instid1(VALU_DEP_1)
	v_lshlrev_b64_e32 v[0:1], 3, v[0:1]
	v_add_co_u32 v0, vcc_lo, s4, v0
	s_wait_alu 0xfffd
	s_delay_alu instid0(VALU_DEP_2)
	v_add_co_ci_u32_e32 v1, vcc_lo, s5, v1, vcc_lo
	s_clause 0x2
	global_load_b128 v[12:15], v[0:1], off offset:1848
	global_load_b128 v[22:25], v[0:1], off offset:1864
	;; [unrolled: 1-line block ×3, first 2 shown]
	s_wait_loadcnt 0x2
	v_mul_f32_e32 v1, v9, v13
	v_dual_mul_f32 v0, v19, v13 :: v_dual_mul_f32 v13, v20, v15
	s_wait_loadcnt 0x0
	v_dual_mul_f32 v15, v10, v15 :: v_dual_mul_f32 v26, v7, v32
	v_mul_f32_e32 v16, v21, v23
	v_mul_f32_e32 v17, v11, v23
	;; [unrolled: 1-line block ×3, first 2 shown]
	v_dual_mul_f32 v25, v4, v25 :: v_dual_fmac_f32 v0, v9, v12
	v_dual_mul_f32 v29, v30, v34 :: v_dual_fmac_f32 v26, v5, v31
	;; [unrolled: 1-line block ×3, first 2 shown]
	v_mul_f32_e32 v32, v28, v34
	s_delay_alu instid0(VALU_DEP_4) | instskip(NEXT) | instid1(VALU_DEP_4)
	v_fma_f32 v6, v6, v24, -v25
	v_fmac_f32_e32 v29, v28, v33
	v_fmac_f32_e32 v13, v10, v14
	v_fma_f32 v10, v21, v22, -v17
	v_fma_f32 v1, v19, v12, -v1
	;; [unrolled: 1-line block ×4, first 2 shown]
	s_delay_alu instid0(VALU_DEP_4)
	v_dual_add_f32 v14, v10, v6 :: v_dual_add_f32 v7, v0, v29
	v_sub_f32_e32 v6, v6, v10
	v_sub_f32_e32 v0, v0, v29
	v_fmac_f32_e32 v23, v4, v24
	v_fma_f32 v4, v30, v33, -v32
	v_add_f32_e32 v12, v9, v5
	v_sub_f32_e32 v5, v9, v5
	s_delay_alu instid0(VALU_DEP_3) | instskip(SKIP_3) | instid1(VALU_DEP_2)
	v_add_f32_e32 v11, v1, v4
	v_sub_f32_e32 v1, v1, v4
	v_dual_add_f32 v4, v13, v26 :: v_dual_add_f32 v9, v16, v23
	v_sub_f32_e32 v13, v13, v26
	v_dual_sub_f32 v15, v23, v16 :: v_dual_add_f32 v10, v4, v7
	v_add_f32_e32 v16, v12, v11
	s_delay_alu instid0(VALU_DEP_4) | instskip(SKIP_1) | instid1(VALU_DEP_3)
	v_dual_sub_f32 v17, v4, v7 :: v_dual_sub_f32 v4, v9, v4
	v_sub_f32_e32 v7, v7, v9
	v_dual_add_f32 v9, v9, v10 :: v_dual_add_f32 v10, v14, v16
	v_add_f32_e32 v21, v6, v5
	v_dual_sub_f32 v23, v6, v5 :: v_dual_sub_f32 v6, v1, v6
	v_sub_f32_e32 v19, v12, v11
	v_dual_sub_f32 v11, v11, v14 :: v_dual_sub_f32 v12, v14, v12
	v_add_f32_e32 v20, v15, v13
	v_dual_sub_f32 v22, v15, v13 :: v_dual_sub_f32 v15, v0, v15
	v_sub_f32_e32 v13, v13, v0
	s_delay_alu instid0(VALU_DEP_3)
	v_add_f32_e32 v14, v20, v0
	v_add_f32_e32 v0, v8, v9
	v_mul_f32_e32 v20, 0x3d64c772, v4
	v_dual_add_f32 v16, v21, v1 :: v_dual_mul_f32 v11, 0x3f4a47b2, v11
	v_mul_f32_e32 v7, 0x3f4a47b2, v7
	v_sub_f32_e32 v5, v5, v1
	v_mul_f32_e32 v21, 0x3d64c772, v12
	v_mul_f32_e32 v22, 0x3f08b237, v22
	v_fmamk_f32 v8, v12, 0x3d64c772, v11
	v_fma_f32 v12, 0x3f3bfb3b, v17, -v20
	v_mul_f32_e32 v23, 0x3f08b237, v23
	v_fmamk_f32 v4, v4, 0x3d64c772, v7
	v_fma_f32 v11, 0xbf3bfb3b, v19, -v11
	v_mul_f32_e32 v25, 0xbf5ff5aa, v5
	v_mul_f32_e32 v24, 0xbf5ff5aa, v13
	v_fma_f32 v20, 0xbf5ff5aa, v5, -v23
	v_add_f32_e32 v1, v18, v10
	v_fma_f32 v18, 0x3f3bfb3b, v19, -v21
	v_fma_f32 v7, 0xbf3bfb3b, v17, -v7
	;; [unrolled: 1-line block ×3, first 2 shown]
	v_fmac_f32_e32 v20, 0xbee1c552, v16
	v_fmamk_f32 v5, v9, 0xbf955555, v0
	v_fmamk_f32 v19, v6, 0xbeae86e6, v23
	v_fma_f32 v13, 0xbf5ff5aa, v13, -v22
	v_fmamk_f32 v6, v10, 0xbf955555, v1
	s_delay_alu instid0(VALU_DEP_4) | instskip(NEXT) | instid1(VALU_DEP_4)
	v_add_f32_e32 v10, v12, v5
	v_dual_add_f32 v12, v7, v5 :: v_dual_fmac_f32 v19, 0xbee1c552, v16
	v_fmac_f32_e32 v21, 0xbee1c552, v16
	v_fmamk_f32 v17, v15, 0xbeae86e6, v22
	v_fma_f32 v15, 0x3eae86e6, v15, -v24
	v_fmac_f32_e32 v13, 0xbee1c552, v14
	v_add_f32_e32 v16, v8, v6
	v_add_f32_e32 v22, v11, v6
	v_dual_add_f32 v11, v18, v6 :: v_dual_add_f32 v6, v21, v12
	v_dual_fmac_f32 v17, 0xbee1c552, v14 :: v_dual_sub_f32 v8, v10, v20
	v_add_f32_e32 v10, v20, v10
	v_dual_fmac_f32 v15, 0xbee1c552, v14 :: v_dual_add_f32 v14, v4, v5
	s_delay_alu instid0(VALU_DEP_1) | instskip(SKIP_1) | instid1(VALU_DEP_3)
	v_dual_sub_f32 v5, v16, v17 :: v_dual_add_f32 v4, v19, v14
	v_sub_f32_e32 v14, v14, v19
	v_dual_sub_f32 v7, v22, v15 :: v_dual_sub_f32 v12, v12, v21
	v_add_f32_e32 v9, v13, v11
	v_sub_f32_e32 v11, v11, v13
	v_add_f32_e32 v13, v15, v22
	v_add_f32_e32 v15, v17, v16
	s_clause 0x6
	global_store_b64 v[2:3], v[0:1], off offset:1232
	global_store_b64 v[2:3], v[4:5], off offset:3168
	;; [unrolled: 1-line block ×7, first 2 shown]
.LBB0_26:
	s_nop 0
	s_sendmsg sendmsg(MSG_DEALLOC_VGPRS)
	s_endpgm
	.section	.rodata,"a",@progbits
	.p2align	6, 0x0
	.amdhsa_kernel fft_rtc_back_len1694_factors_11_2_11_7_wgs_154_tpt_154_halfLds_sp_ip_CI_unitstride_sbrr_dirReg
		.amdhsa_group_segment_fixed_size 0
		.amdhsa_private_segment_fixed_size 0
		.amdhsa_kernarg_size 88
		.amdhsa_user_sgpr_count 2
		.amdhsa_user_sgpr_dispatch_ptr 0
		.amdhsa_user_sgpr_queue_ptr 0
		.amdhsa_user_sgpr_kernarg_segment_ptr 1
		.amdhsa_user_sgpr_dispatch_id 0
		.amdhsa_user_sgpr_private_segment_size 0
		.amdhsa_wavefront_size32 1
		.amdhsa_uses_dynamic_stack 0
		.amdhsa_enable_private_segment 0
		.amdhsa_system_sgpr_workgroup_id_x 1
		.amdhsa_system_sgpr_workgroup_id_y 0
		.amdhsa_system_sgpr_workgroup_id_z 0
		.amdhsa_system_sgpr_workgroup_info 0
		.amdhsa_system_vgpr_workitem_id 0
		.amdhsa_next_free_vgpr 84
		.amdhsa_next_free_sgpr 32
		.amdhsa_reserve_vcc 1
		.amdhsa_float_round_mode_32 0
		.amdhsa_float_round_mode_16_64 0
		.amdhsa_float_denorm_mode_32 3
		.amdhsa_float_denorm_mode_16_64 3
		.amdhsa_fp16_overflow 0
		.amdhsa_workgroup_processor_mode 1
		.amdhsa_memory_ordered 1
		.amdhsa_forward_progress 0
		.amdhsa_round_robin_scheduling 0
		.amdhsa_exception_fp_ieee_invalid_op 0
		.amdhsa_exception_fp_denorm_src 0
		.amdhsa_exception_fp_ieee_div_zero 0
		.amdhsa_exception_fp_ieee_overflow 0
		.amdhsa_exception_fp_ieee_underflow 0
		.amdhsa_exception_fp_ieee_inexact 0
		.amdhsa_exception_int_div_zero 0
	.end_amdhsa_kernel
	.text
.Lfunc_end0:
	.size	fft_rtc_back_len1694_factors_11_2_11_7_wgs_154_tpt_154_halfLds_sp_ip_CI_unitstride_sbrr_dirReg, .Lfunc_end0-fft_rtc_back_len1694_factors_11_2_11_7_wgs_154_tpt_154_halfLds_sp_ip_CI_unitstride_sbrr_dirReg
                                        ; -- End function
	.section	.AMDGPU.csdata,"",@progbits
; Kernel info:
; codeLenInByte = 9832
; NumSgprs: 34
; NumVgprs: 84
; ScratchSize: 0
; MemoryBound: 0
; FloatMode: 240
; IeeeMode: 1
; LDSByteSize: 0 bytes/workgroup (compile time only)
; SGPRBlocks: 4
; VGPRBlocks: 10
; NumSGPRsForWavesPerEU: 34
; NumVGPRsForWavesPerEU: 84
; Occupancy: 15
; WaveLimiterHint : 1
; COMPUTE_PGM_RSRC2:SCRATCH_EN: 0
; COMPUTE_PGM_RSRC2:USER_SGPR: 2
; COMPUTE_PGM_RSRC2:TRAP_HANDLER: 0
; COMPUTE_PGM_RSRC2:TGID_X_EN: 1
; COMPUTE_PGM_RSRC2:TGID_Y_EN: 0
; COMPUTE_PGM_RSRC2:TGID_Z_EN: 0
; COMPUTE_PGM_RSRC2:TIDIG_COMP_CNT: 0
	.text
	.p2alignl 7, 3214868480
	.fill 96, 4, 3214868480
	.type	__hip_cuid_b80722eeb73cbb43,@object ; @__hip_cuid_b80722eeb73cbb43
	.section	.bss,"aw",@nobits
	.globl	__hip_cuid_b80722eeb73cbb43
__hip_cuid_b80722eeb73cbb43:
	.byte	0                               ; 0x0
	.size	__hip_cuid_b80722eeb73cbb43, 1

	.ident	"AMD clang version 19.0.0git (https://github.com/RadeonOpenCompute/llvm-project roc-6.4.0 25133 c7fe45cf4b819c5991fe208aaa96edf142730f1d)"
	.section	".note.GNU-stack","",@progbits
	.addrsig
	.addrsig_sym __hip_cuid_b80722eeb73cbb43
	.amdgpu_metadata
---
amdhsa.kernels:
  - .args:
      - .actual_access:  read_only
        .address_space:  global
        .offset:         0
        .size:           8
        .value_kind:     global_buffer
      - .offset:         8
        .size:           8
        .value_kind:     by_value
      - .actual_access:  read_only
        .address_space:  global
        .offset:         16
        .size:           8
        .value_kind:     global_buffer
      - .actual_access:  read_only
        .address_space:  global
        .offset:         24
        .size:           8
        .value_kind:     global_buffer
      - .offset:         32
        .size:           8
        .value_kind:     by_value
      - .actual_access:  read_only
        .address_space:  global
        .offset:         40
        .size:           8
        .value_kind:     global_buffer
      - .actual_access:  read_only
        .address_space:  global
        .offset:         48
        .size:           8
        .value_kind:     global_buffer
      - .offset:         56
        .size:           4
        .value_kind:     by_value
      - .actual_access:  read_only
        .address_space:  global
        .offset:         64
        .size:           8
        .value_kind:     global_buffer
      - .actual_access:  read_only
        .address_space:  global
        .offset:         72
        .size:           8
        .value_kind:     global_buffer
      - .address_space:  global
        .offset:         80
        .size:           8
        .value_kind:     global_buffer
    .group_segment_fixed_size: 0
    .kernarg_segment_align: 8
    .kernarg_segment_size: 88
    .language:       OpenCL C
    .language_version:
      - 2
      - 0
    .max_flat_workgroup_size: 154
    .name:           fft_rtc_back_len1694_factors_11_2_11_7_wgs_154_tpt_154_halfLds_sp_ip_CI_unitstride_sbrr_dirReg
    .private_segment_fixed_size: 0
    .sgpr_count:     34
    .sgpr_spill_count: 0
    .symbol:         fft_rtc_back_len1694_factors_11_2_11_7_wgs_154_tpt_154_halfLds_sp_ip_CI_unitstride_sbrr_dirReg.kd
    .uniform_work_group_size: 1
    .uses_dynamic_stack: false
    .vgpr_count:     84
    .vgpr_spill_count: 0
    .wavefront_size: 32
    .workgroup_processor_mode: 1
amdhsa.target:   amdgcn-amd-amdhsa--gfx1201
amdhsa.version:
  - 1
  - 2
...

	.end_amdgpu_metadata
